;; amdgpu-corpus repo=ROCm/rocFFT kind=compiled arch=gfx950 opt=O3
	.text
	.amdgcn_target "amdgcn-amd-amdhsa--gfx950"
	.amdhsa_code_object_version 6
	.protected	bluestein_single_back_len153_dim1_sp_op_CI_CI ; -- Begin function bluestein_single_back_len153_dim1_sp_op_CI_CI
	.globl	bluestein_single_back_len153_dim1_sp_op_CI_CI
	.p2align	8
	.type	bluestein_single_back_len153_dim1_sp_op_CI_CI,@function
bluestein_single_back_len153_dim1_sp_op_CI_CI: ; @bluestein_single_back_len153_dim1_sp_op_CI_CI
; %bb.0:
	s_load_dwordx4 s[8:11], s[0:1], 0x28
	v_mul_u32_u24_e32 v1, 0xf10, v0
	v_lshrrev_b32_e32 v2, 16, v1
	v_mad_u64_u32 v[4:5], s[2:3], s2, 7, v[2:3]
	v_mov_b32_e32 v5, 0
	s_waitcnt lgkmcnt(0)
	v_cmp_gt_u64_e32 vcc, s[8:9], v[4:5]
	s_and_saveexec_b64 s[2:3], vcc
	s_cbranch_execz .LBB0_15
; %bb.1:
	v_mul_lo_u16_e32 v1, 17, v2
	s_mov_b32 s2, 0x24924925
	v_sub_u16_e32 v51, v0, v1
	v_mul_hi_u32 v0, v4, s2
	v_sub_u32_e32 v1, v4, v0
	v_lshrrev_b32_e32 v1, 1, v1
	v_add_u32_e32 v0, v1, v0
	v_lshrrev_b32_e32 v0, 2, v0
	s_load_dwordx2 s[8:9], s[0:1], 0x0
	s_load_dwordx2 s[12:13], s[0:1], 0x38
	v_mul_lo_u32 v0, v0, 7
	v_sub_u32_e32 v0, v4, v0
	v_mul_u32_u24_e32 v50, 0x99, v0
	v_lshlrev_b32_e32 v0, 3, v51
	v_accvgpr_write_b32 a0, v0
	v_lshlrev_b32_e32 v0, 3, v50
	v_accvgpr_write_b32 a2, v4
	v_cmp_gt_u16_e32 vcc, 9, v51
	v_accvgpr_write_b32 a3, v0
	s_mov_b64 s[2:3], exec
	s_and_b64 s[4:5], s[2:3], vcc
	v_accvgpr_write_b32 a1, v50
	s_mov_b64 exec, s[4:5]
	s_cbranch_execz .LBB0_3
; %bb.2:
	s_load_dwordx2 s[4:5], s[0:1], 0x18
	v_accvgpr_read_b32 v10, a2
	v_mov_b32_e32 v0, s10
	v_mov_b32_e32 v1, s11
	;; [unrolled: 1-line block ×3, first 2 shown]
	s_waitcnt lgkmcnt(0)
	s_load_dwordx4 s[4:7], s[4:5], 0x0
	v_accvgpr_read_b32 v74, a0
	s_waitcnt lgkmcnt(0)
	v_mad_u64_u32 v[2:3], s[10:11], s6, v10, 0
	v_mad_u64_u32 v[4:5], s[10:11], s4, v51, 0
	v_mov_b32_e32 v6, v3
	v_mov_b32_e32 v8, v5
	v_mad_u64_u32 v[6:7], s[6:7], s7, v10, v[6:7]
	v_mov_b32_e32 v3, v6
	v_mad_u64_u32 v[6:7], s[6:7], s5, v51, v[8:9]
	v_mov_b32_e32 v5, v6
	v_lshl_add_u64 v[2:3], v[2:3], 3, v[0:1]
	v_lshl_add_u64 v[4:5], v[4:5], 3, v[2:3]
	v_mad_u64_u32 v[24:25], s[6:7], s4, v50, v[4:5]
	s_mul_i32 s6, s5, 0x48
	s_nop 0
	v_add_u32_e32 v25, s6, v25
	v_mad_u64_u32 v[26:27], s[10:11], s4, v50, v[24:25]
	v_add_u32_e32 v27, s6, v27
	v_mad_u64_u32 v[28:29], s[10:11], s4, v50, v[26:27]
	;; [unrolled: 2-line block ×3, first 2 shown]
	v_add_u32_e32 v31, s6, v31
	global_load_dwordx2 v[0:1], v[4:5], off
	global_load_dwordx2 v[10:11], v74, s[8:9]
	global_load_dwordx2 v[8:9], v74, s[8:9] offset:72
	global_load_dwordx2 v[6:7], v74, s[8:9] offset:144
	s_nop 0
	global_load_dwordx2 v[4:5], v74, s[8:9] offset:216
	global_load_dwordx2 v[20:21], v[24:25], off
	global_load_dwordx2 v[18:19], v[26:27], off
	;; [unrolled: 1-line block ×4, first 2 shown]
	global_load_dwordx2 v[16:17], v74, s[8:9] offset:288
	global_load_dwordx2 v[22:23], v74, s[8:9] offset:360
	global_load_dwordx2 v[32:33], v74, s[8:9] offset:432
	global_load_dwordx2 v[34:35], v74, s[8:9] offset:504
	v_mad_u64_u32 v[28:29], s[10:11], s4, v50, v[30:31]
	v_add_u32_e32 v29, s6, v29
	global_load_dwordx2 v[30:31], v[28:29], off
	v_mad_u64_u32 v[28:29], s[10:11], s4, v50, v[28:29]
	v_add_u32_e32 v29, s6, v29
	global_load_dwordx2 v[36:37], v[28:29], off
	v_mad_u64_u32 v[28:29], s[10:11], s4, v50, v[28:29]
	v_add_u32_e32 v29, s6, v29
	global_load_dwordx2 v[38:39], v[28:29], off
	v_mad_u64_u32 v[28:29], s[10:11], s4, v50, v[28:29]
	v_add_u32_e32 v29, s6, v29
	global_load_dwordx2 v[40:41], v[28:29], off
	v_mad_u64_u32 v[28:29], s[10:11], s4, v50, v[28:29]
	v_add_u32_e32 v29, s6, v29
	global_load_dwordx2 v[42:43], v74, s[8:9] offset:576
	global_load_dwordx2 v[44:45], v[28:29], off
	v_mad_u64_u32 v[28:29], s[10:11], s4, v50, v[28:29]
	v_add_u32_e32 v29, s6, v29
	global_load_dwordx2 v[46:47], v74, s[8:9] offset:648
	global_load_dwordx2 v[48:49], v[28:29], off
	;; [unrolled: 4-line block ×3, first 2 shown]
	global_load_dwordx2 v[56:57], v74, s[8:9] offset:792
	v_mad_u64_u32 v[28:29], s[10:11], s4, v50, v[28:29]
	v_add_u32_e32 v29, s6, v29
	v_or_b32_e32 v27, 0x90, v51
	global_load_dwordx2 v[58:59], v[28:29], off
	global_load_dwordx2 v[60:61], v74, s[8:9] offset:864
	v_mad_u64_u32 v[28:29], s[10:11], s4, v50, v[28:29]
	v_mad_u64_u32 v[24:25], s[10:11], s4, v27, 0
	v_add_u32_e32 v29, s6, v29
	v_mov_b32_e32 v26, v25
	global_load_dwordx2 v[62:63], v[28:29], off
	global_load_dwordx2 v[64:65], v74, s[8:9] offset:936
	v_mad_u64_u32 v[28:29], s[10:11], s4, v50, v[28:29]
	v_mad_u64_u32 v[26:27], s[10:11], s5, v27, v[26:27]
	v_add_u32_e32 v29, s6, v29
	global_load_dwordx2 v[66:67], v[28:29], off
	global_load_dwordx2 v[68:69], v74, s[8:9] offset:1008
	v_mad_u64_u32 v[28:29], s[4:5], s4, v50, v[28:29]
	v_mov_b32_e32 v25, v26
	v_add_u32_e32 v29, s6, v29
	v_lshl_add_u64 v[2:3], v[24:25], 3, v[2:3]
	global_load_dwordx2 v[70:71], v[28:29], off
	global_load_dwordx2 v[72:73], v74, s[8:9] offset:1080
	global_load_dwordx2 v[24:25], v[2:3], off
	global_load_dwordx2 v[26:27], v74, s[8:9] offset:1152
	v_accvgpr_read_b32 v2, a3
	v_lshl_add_u32 v28, v51, 3, v2
	v_add_u32_e32 v29, v2, v74
	v_accvgpr_read_b32 v50, a1
	s_waitcnt vmcnt(32)
	v_mul_f32_e32 v2, v1, v11
	v_mul_f32_e32 v3, v0, v11
	v_fmac_f32_e32 v2, v0, v10
	v_fma_f32 v3, v1, v10, -v3
	ds_write_b64 v28, v[2:3]
	s_waitcnt vmcnt(28)
	v_mul_f32_e32 v0, v21, v9
	v_mul_f32_e32 v1, v20, v9
	s_waitcnt vmcnt(27)
	v_mul_f32_e32 v2, v19, v7
	v_mul_f32_e32 v3, v18, v7
	v_fmac_f32_e32 v0, v20, v8
	v_fma_f32 v1, v21, v8, -v1
	v_fmac_f32_e32 v2, v18, v6
	v_fma_f32 v3, v19, v6, -v3
	ds_write2_b64 v29, v[0:1], v[2:3] offset0:9 offset1:18
	s_waitcnt vmcnt(24)
	v_mul_f32_e32 v2, v12, v17
	v_mul_f32_e32 v0, v15, v5
	;; [unrolled: 1-line block ×3, first 2 shown]
	v_fma_f32 v3, v13, v16, -v2
	v_mul_f32_e32 v2, v13, v17
	v_fmac_f32_e32 v0, v14, v4
	v_fma_f32 v1, v15, v4, -v1
	v_fmac_f32_e32 v2, v12, v16
	ds_write2_b64 v29, v[0:1], v[2:3] offset0:27 offset1:36
	s_waitcnt vmcnt(20)
	v_mul_f32_e32 v0, v31, v23
	v_mul_f32_e32 v1, v30, v23
	s_waitcnt vmcnt(19)
	v_mul_f32_e32 v2, v37, v33
	v_mul_f32_e32 v3, v36, v33
	v_fmac_f32_e32 v0, v30, v22
	v_fma_f32 v1, v31, v22, -v1
	v_fmac_f32_e32 v2, v36, v32
	v_fma_f32 v3, v37, v32, -v3
	ds_write2_b64 v29, v[0:1], v[2:3] offset0:45 offset1:54
	s_waitcnt vmcnt(18)
	v_mul_f32_e32 v0, v39, v35
	v_mul_f32_e32 v1, v38, v35
	s_waitcnt vmcnt(16)
	v_mul_f32_e32 v2, v41, v43
	v_mul_f32_e32 v3, v40, v43
	v_fmac_f32_e32 v0, v38, v34
	v_fma_f32 v1, v39, v34, -v1
	v_fmac_f32_e32 v2, v40, v42
	v_fma_f32 v3, v41, v42, -v3
	;; [unrolled: 11-line block ×6, first 2 shown]
	ds_write2_b64 v29, v[0:1], v[2:3] offset0:135 offset1:144
.LBB0_3:
	s_or_b64 exec, exec, s[2:3]
	s_load_dwordx2 s[2:3], s[0:1], 0x20
	s_load_dwordx2 s[4:5], s[0:1], 0x8
	v_mov_b32_e32 v0, 0
	v_mov_b32_e32 v1, 0
	s_waitcnt lgkmcnt(0)
	s_barrier
	s_waitcnt lgkmcnt(0)
                                        ; implicit-def: $vgpr6
                                        ; implicit-def: $vgpr12
                                        ; implicit-def: $vgpr10
                                        ; implicit-def: $vgpr32
                                        ; implicit-def: $vgpr26
                                        ; implicit-def: $vgpr16
                                        ; implicit-def: $vgpr42
                                        ; implicit-def: $vgpr38
	s_and_saveexec_b64 s[0:1], vcc
	s_cbranch_execz .LBB0_5
; %bb.4:
	v_accvgpr_read_b32 v0, a0
	v_lshl_add_u32 v16, v50, 3, v0
	ds_read2_b64 v[0:3], v16 offset1:9
	ds_read2_b64 v[36:39], v16 offset0:18 offset1:27
	ds_read2_b64 v[24:27], v16 offset0:36 offset1:45
	;; [unrolled: 1-line block ×7, first 2 shown]
	ds_read_b64 v[16:17], v16 offset:1152
.LBB0_5:
	s_or_b64 exec, exec, s[0:1]
	s_waitcnt lgkmcnt(0)
	v_accvgpr_write_b32 a4, v16
	s_mov_b32 s0, 0xbf2c7751
	v_pk_add_f32 v[44:45], v[16:17], v[2:3]
	v_accvgpr_write_b32 a5, v17
	v_pk_add_f32 v[16:17], v[2:3], v[16:17] neg_lo:[0,1] neg_hi:[0,1]
	s_mov_b32 s1, 0x3f3d2fb0
	v_mov_b32_e32 v49, v45
	v_mov_b32_e32 v45, v16
	s_mov_b32 s6, s1
	s_mov_b32 s7, s0
	v_mov_b32_e32 v48, v17
	v_pk_mul_f32 v[16:17], v[44:45], s[6:7]
	s_mov_b32 s6, 0xbf7ee86f
	v_pk_add_f32 v[52:53], v[42:43], v[36:37]
	v_pk_add_f32 v[96:97], v[36:37], v[42:43] neg_lo:[0,1] neg_hi:[0,1]
	s_mov_b32 s7, 0x3dbcf732
	v_mov_b32_e32 v72, v52
	v_mov_b32_e32 v73, v96
	s_mov_b32 s36, s7
	s_mov_b32 s37, s6
	v_accvgpr_write_b32 a8, v16
	v_pk_mul_f32 v[18:19], v[72:73], s[36:37]
	v_pk_fma_f32 v[20:21], v[48:49], s[0:1], v[16:17]
	v_accvgpr_write_b32 a9, v17
	v_pk_fma_f32 v[16:17], v[48:49], s[0:1], v[16:17] neg_lo:[0,0,1] neg_hi:[0,0,1]
	v_mov_b32_e32 v58, v97
	v_mov_b32_e32 v59, v53
	v_accvgpr_write_b32 a12, v18
	s_mov_b32 s10, 0xbf65296c
	v_pk_fma_f32 v[22:23], v[58:59], s[6:7], v[18:19]
	v_accvgpr_write_b32 a13, v19
	v_pk_fma_f32 v[18:19], v[58:59], s[6:7], v[18:19] neg_lo:[0,0,1] neg_hi:[0,0,1]
	s_mov_b32 s11, 0x3ee437d1
	v_mov_b32_e32 v16, v20
	s_mov_b32 s14, s11
	s_mov_b32 s15, s10
	v_pk_add_f32 v[16:17], v[16:17], v[0:1]
	v_mov_b32_e32 v18, v22
	v_pk_add_f32 v[16:17], v[18:19], v[16:17]
	v_pk_mul_f32 v[18:19], v[44:45], s[14:15]
	s_mov_b32 s14, 0xbf4c4adb
	s_mov_b32 s15, 0xbf1a4643
	v_accvgpr_write_b32 a18, v18
	v_accvgpr_write_b32 a7, v21
	s_mov_b32 s46, s15
	s_mov_b32 s47, s14
	v_pk_fma_f32 v[20:21], v[48:49], s[10:11], v[18:19]
	v_accvgpr_write_b32 a19, v19
	v_pk_fma_f32 v[18:19], v[48:49], s[10:11], v[18:19] neg_lo:[0,0,1] neg_hi:[0,0,1]
	v_accvgpr_write_b32 a21, v21
	v_mov_b32_e32 v18, v20
	v_pk_mul_f32 v[20:21], v[72:73], s[46:47]
	v_accvgpr_write_b32 a11, v23
	v_accvgpr_write_b32 a27, v21
	v_pk_fma_f32 v[22:23], v[58:59], s[14:15], v[20:21]
	v_accvgpr_write_b32 a26, v20
	v_pk_fma_f32 v[20:21], v[58:59], s[14:15], v[20:21] neg_lo:[0,0,1] neg_hi:[0,0,1]
	v_pk_add_f32 v[18:19], v[18:19], v[0:1]
	v_mov_b32_e32 v20, v22
	v_pk_add_f32 v[124:125], v[38:39], v[40:41] neg_lo:[0,1] neg_hi:[0,1]
	v_pk_add_f32 v[18:19], v[20:21], v[18:19]
	s_mov_b32 s24, s15
	v_pk_add_f32 v[122:123], v[40:41], v[38:39]
	v_pk_mul_f32 v[20:21], v[124:125], s[14:15] op_sel_hi:[1,0]
	v_accvgpr_write_b32 a23, v23
	v_pk_fma_f32 v[22:23], v[122:123], s[24:25], v[20:21] op_sel:[0,0,1] op_sel_hi:[1,0,0]
	v_pk_fma_f32 v[68:69], v[122:123], s[24:25], v[20:21] op_sel:[0,0,1] op_sel_hi:[1,0,0] neg_lo:[0,0,1] neg_hi:[0,0,1]
	v_mov_b32_e32 v20, v22
	v_mov_b32_e32 v21, v69
	s_mov_b32 s16, 0x3e3c28d5
	v_pk_add_f32 v[16:17], v[20:21], v[16:17]
	s_mov_b32 s26, 0xbf7ba420
	v_pk_mul_f32 v[20:21], v[124:125], s[16:17] op_sel_hi:[1,0]
	v_accvgpr_write_b32 a15, v23
	v_pk_fma_f32 v[22:23], v[122:123], s[26:27], v[20:21] op_sel:[0,0,1] op_sel_hi:[1,0,0]
	v_pk_fma_f32 v[64:65], v[122:123], s[26:27], v[20:21] op_sel:[0,0,1] op_sel_hi:[1,0,0] neg_lo:[0,0,1] neg_hi:[0,0,1]
	v_mov_b32_e32 v20, v22
	v_mov_b32_e32 v21, v65
	s_mov_b32 s16, 0xbe3c28d5
	s_mov_b32 s17, s26
	v_pk_add_f32 v[140:141], v[24:25], v[34:35] neg_lo:[0,1] neg_hi:[0,1]
	v_pk_add_f32 v[18:19], v[20:21], v[18:19]
	s_mov_b32 s27, s16
	v_pk_add_f32 v[138:139], v[34:35], v[24:25]
	v_pk_mul_f32 v[20:21], v[140:141], s[16:17] op_sel:[1,0] op_sel_hi:[0,0]
	v_mov_b32_e32 v69, v23
	v_pk_fma_f32 v[22:23], v[138:139], s[26:27], v[20:21] op_sel_hi:[1,0,1]
	v_pk_fma_f32 v[86:87], v[138:139], s[26:27], v[20:21] op_sel_hi:[1,0,1] neg_lo:[0,0,1] neg_hi:[0,0,1]
	v_mov_b32_e32 v20, v22
	v_mov_b32_e32 v21, v87
	s_mov_b32 s22, 0x3f763a35
	v_pk_add_f32 v[16:17], v[20:21], v[16:17]
	s_mov_b32 s30, 0xbe8c1d8e
	v_pk_mul_f32 v[20:21], v[124:125], s[22:23] op_sel_hi:[1,0]
	s_mov_b32 s18, 0xbf763a35
	v_pk_fma_f32 v[30:31], v[122:123], s[30:31], v[20:21] op_sel:[0,0,1] op_sel_hi:[1,0,0]
	v_pk_fma_f32 v[70:71], v[122:123], s[30:31], v[20:21] op_sel:[0,0,1] op_sel_hi:[1,0,0] neg_lo:[0,0,1] neg_hi:[0,0,1]
	s_mov_b32 s31, s18
	s_mov_b32 s23, s30
	v_pk_mul_f32 v[112:113], v[44:45], s[30:31]
	s_mov_b32 s31, s22
	v_pk_mul_f32 v[20:21], v[140:141], s[22:23] op_sel:[1,0] op_sel_hi:[0,0]
	v_accvgpr_write_b32 a25, v23
	v_pk_fma_f32 v[22:23], v[138:139], s[30:31], v[20:21] op_sel_hi:[1,0,1]
	v_pk_fma_f32 v[76:77], v[138:139], s[30:31], v[20:21] op_sel_hi:[1,0,1] neg_lo:[0,0,1] neg_hi:[0,0,1]
	s_mov_b32 s20, 0x3f06c442
	v_mov_b32_e32 v20, v22
	v_mov_b32_e32 v21, v77
	s_mov_b32 s21, 0xbf59a7d5
	v_pk_add_f32 v[180:181], v[26:27], v[32:33] neg_lo:[0,1] neg_hi:[0,1]
	v_pk_add_f32 v[18:19], v[20:21], v[18:19]
	s_mov_b32 s34, s21
	v_pk_add_f32 v[172:173], v[32:33], v[26:27]
	v_pk_mul_f32 v[20:21], v[180:181], s[20:21] op_sel:[1,0] op_sel_hi:[0,0]
	v_accvgpr_write_b32 a17, v23
	v_pk_fma_f32 v[22:23], v[172:173], s[34:35], v[20:21] op_sel_hi:[1,0,1]
	v_pk_fma_f32 v[100:101], v[172:173], s[34:35], v[20:21] op_sel_hi:[1,0,1] neg_lo:[0,0,1] neg_hi:[0,0,1]
	v_mov_b32_e32 v20, v22
	v_mov_b32_e32 v21, v101
	s_mov_b32 s42, 0x3f2c7751
	v_pk_add_f32 v[16:17], v[20:21], v[16:17]
	s_mov_b32 s40, s1
	v_pk_mul_f32 v[20:21], v[180:181], s[42:43] op_sel:[1,0] op_sel_hi:[0,0]
	v_mov_b32_e32 v77, v23
	v_pk_fma_f32 v[22:23], v[172:173], s[40:41], v[20:21] op_sel_hi:[1,0,1]
	v_pk_fma_f32 v[94:95], v[172:173], s[40:41], v[20:21] op_sel_hi:[1,0,1] neg_lo:[0,0,1] neg_hi:[0,0,1]
	v_mov_b32_e32 v20, v22
	v_mov_b32_e32 v21, v95
	v_pk_add_f32 v[198:199], v[8:9], v[14:15] neg_lo:[0,1] neg_hi:[0,1]
	v_pk_add_f32 v[18:19], v[20:21], v[18:19]
	v_pk_add_f32 v[194:195], v[14:15], v[8:9]
	v_pk_mul_f32 v[20:21], v[198:199], s[22:23] op_sel:[1,0] op_sel_hi:[0,0]
	v_accvgpr_write_b32 a29, v23
	v_pk_fma_f32 v[22:23], v[194:195], s[30:31], v[20:21] op_sel_hi:[1,0,1]
	v_pk_fma_f32 v[110:111], v[194:195], s[30:31], v[20:21] op_sel_hi:[1,0,1] neg_lo:[0,0,1] neg_hi:[0,0,1]
	s_mov_b32 s28, 0xbeb8f4ab
	v_mov_b32_e32 v20, v22
	v_mov_b32_e32 v21, v111
	s_mov_b32 s29, 0x3f6eb680
	v_pk_add_f32 v[16:17], v[20:21], v[16:17]
	s_mov_b32 s54, s29
	v_pk_mul_f32 v[20:21], v[198:199], s[28:29] op_sel:[1,0] op_sel_hi:[0,0]
	v_mov_b32_e32 v95, v23
	v_pk_fma_f32 v[22:23], v[194:195], s[54:55], v[20:21] op_sel_hi:[1,0,1]
	v_pk_fma_f32 v[106:107], v[194:195], s[54:55], v[20:21] op_sel_hi:[1,0,1] neg_lo:[0,0,1] neg_hi:[0,0,1]
	v_mov_b32_e32 v20, v22
	v_mov_b32_e32 v21, v107
	s_mov_b32 s38, 0x3f65296c
	s_mov_b32 s39, s11
	v_pk_add_f32 v[240:241], v[10:11], v[12:13] neg_lo:[0,1] neg_hi:[0,1]
	v_pk_add_f32 v[18:19], v[20:21], v[18:19]
	s_mov_b32 s50, s11
	v_pk_add_f32 v[238:239], v[12:13], v[10:11]
	v_pk_mul_f32 v[20:21], v[240:241], s[38:39] op_sel:[1,0] op_sel_hi:[0,0]
	v_accvgpr_write_b32 a31, v23
	v_pk_fma_f32 v[22:23], v[238:239], s[50:51], v[20:21] op_sel_hi:[1,0,1]
	v_pk_fma_f32 v[120:121], v[238:239], s[50:51], v[20:21] op_sel_hi:[1,0,1] neg_lo:[0,0,1] neg_hi:[0,0,1]
	v_mov_b32_e32 v20, v22
	v_mov_b32_e32 v21, v121
	v_pk_add_f32 v[16:17], v[20:21], v[16:17]
	s_mov_b32 s52, s7
	v_pk_mul_f32 v[20:21], v[240:241], s[6:7] op_sel:[1,0] op_sel_hi:[0,0]
	v_mov_b32_e32 v107, v23
	v_pk_fma_f32 v[22:23], v[238:239], s[52:53], v[20:21] op_sel_hi:[1,0,1]
	v_pk_fma_f32 v[116:117], v[238:239], s[52:53], v[20:21] op_sel_hi:[1,0,1] neg_lo:[0,0,1] neg_hi:[0,0,1]
	v_mov_b32_e32 v20, v22
	v_mov_b32_e32 v21, v117
	s_mov_b32 s48, 0x3eb8f4ab
	v_pk_add_f32 v[236:237], v[4:5], v[6:7] neg_lo:[0,1] neg_hi:[0,1]
	v_pk_add_f32 v[20:21], v[20:21], v[18:19]
	v_pk_add_f32 v[234:235], v[6:7], v[4:5]
	v_pk_mul_f32 v[18:19], v[236:237], s[48:49] op_sel:[1,0] op_sel_hi:[0,0]
	v_accvgpr_write_b32 a33, v23
	s_mov_b32 s44, 0xbf06c442
	v_pk_fma_f32 v[22:23], v[234:235], s[54:55], v[18:19] op_sel_hi:[1,0,1]
	v_pk_fma_f32 v[134:135], v[234:235], s[54:55], v[18:19] op_sel_hi:[1,0,1] neg_lo:[0,0,1] neg_hi:[0,0,1]
	v_pk_mul_f32 v[28:29], v[140:141], s[44:45] op_sel:[1,0] op_sel_hi:[0,0]
	s_mov_b32 s45, s21
	v_mov_b32_e32 v18, v22
	v_mov_b32_e32 v19, v135
	v_pk_add_f32 v[18:19], v[18:19], v[16:17]
	v_pk_mul_f32 v[16:17], v[236:237], s[44:45] op_sel:[1,0] op_sel_hi:[0,0]
	v_mov_b32_e32 v117, v23
	v_pk_fma_f32 v[22:23], v[234:235], s[34:35], v[16:17] op_sel_hi:[1,0,1]
	v_pk_fma_f32 v[128:129], v[234:235], s[34:35], v[16:17] op_sel_hi:[1,0,1] neg_lo:[0,0,1] neg_hi:[0,0,1]
	v_mov_b32_e32 v16, v22
	v_mov_b32_e32 v17, v129
	v_pk_mul_f32 v[212:213], v[44:45], s[36:37]
	v_pk_add_f32 v[16:17], v[16:17], v[20:21]
	v_pk_fma_f32 v[208:209], v[48:49], s[6:7], v[212:213]
	v_pk_fma_f32 v[20:21], v[48:49], s[6:7], v[212:213] neg_lo:[0,0,1] neg_hi:[0,0,1]
	v_pk_mul_f32 v[214:215], v[72:73], s[26:27]
	v_accvgpr_write_b32 a35, v23
	v_mov_b32_e32 v20, v208
	v_pk_fma_f32 v[210:211], v[58:59], s[16:17], v[214:215]
	v_pk_fma_f32 v[22:23], v[58:59], s[16:17], v[214:215] neg_lo:[0,0,1] neg_hi:[0,0,1]
	v_pk_add_f32 v[20:21], v[20:21], v[0:1]
	v_mov_b32_e32 v22, v210
	v_pk_add_f32 v[20:21], v[22:23], v[20:21]
	v_mov_b32_e32 v22, v30
	v_mov_b32_e32 v23, v71
	s_mov_b32 s19, s30
	s_mov_b32 s36, s21
	;; [unrolled: 1-line block ×3, first 2 shown]
	v_pk_add_f32 v[20:21], v[22:23], v[20:21]
	v_pk_fma_f32 v[222:223], v[48:49], s[18:19], v[112:113]
	v_pk_fma_f32 v[22:23], v[48:49], s[18:19], v[112:113] neg_lo:[0,0,1] neg_hi:[0,0,1]
	v_pk_mul_f32 v[226:227], v[72:73], s[36:37]
	v_mov_b32_e32 v65, v31
	v_mov_b32_e32 v22, v222
	v_pk_fma_f32 v[224:225], v[58:59], s[20:21], v[226:227]
	v_pk_fma_f32 v[30:31], v[58:59], s[20:21], v[226:227] neg_lo:[0,0,1] neg_hi:[0,0,1]
	v_pk_add_f32 v[22:23], v[22:23], v[0:1]
	v_mov_b32_e32 v30, v224
	v_pk_add_f32 v[22:23], v[30:31], v[22:23]
	v_pk_mul_f32 v[30:31], v[124:125], s[42:43] op_sel_hi:[1,0]
	s_mov_b32 s36, 0x3f7ee86f
	v_pk_fma_f32 v[228:229], v[122:123], s[40:41], v[30:31] op_sel:[0,0,1] op_sel_hi:[1,0,0]
	v_pk_fma_f32 v[130:131], v[122:123], s[40:41], v[30:31] op_sel:[0,0,1] op_sel_hi:[1,0,0] neg_lo:[0,0,1] neg_hi:[0,0,1]
	v_mov_b32_e32 v30, v228
	v_mov_b32_e32 v31, v131
	v_pk_add_f32 v[22:23], v[30:31], v[22:23]
	v_pk_mul_f32 v[30:31], v[140:141], s[48:49] op_sel:[1,0] op_sel_hi:[0,0]
	v_pk_fma_f32 v[220:221], v[138:139], s[54:55], v[30:31] op_sel_hi:[1,0,1]
	v_pk_fma_f32 v[144:145], v[138:139], s[54:55], v[30:31] op_sel_hi:[1,0,1] neg_lo:[0,0,1] neg_hi:[0,0,1]
	v_mov_b32_e32 v30, v220
	v_mov_b32_e32 v31, v145
	v_pk_add_f32 v[20:21], v[30:31], v[20:21]
	v_pk_mul_f32 v[30:31], v[140:141], s[10:11] op_sel:[1,0] op_sel_hi:[0,0]
	v_pk_fma_f32 v[230:231], v[138:139], s[50:51], v[30:31] op_sel_hi:[1,0,1]
	v_pk_fma_f32 v[136:137], v[138:139], s[50:51], v[30:31] op_sel_hi:[1,0,1] neg_lo:[0,0,1] neg_hi:[0,0,1]
	;; [unrolled: 6-line block ×4, first 2 shown]
	v_mov_b32_e32 v30, v232
	v_mov_b32_e32 v31, v143
	v_pk_add_f32 v[22:23], v[30:31], v[22:23]
	v_pk_mul_f32 v[30:31], v[198:199], s[44:45] op_sel:[1,0] op_sel_hi:[0,0]
	v_accvgpr_write_b32 a37, v47
	v_pk_fma_f32 v[46:47], v[194:195], s[34:35], v[30:31] op_sel_hi:[1,0,1]
	v_pk_fma_f32 v[156:157], v[194:195], s[34:35], v[30:31] op_sel_hi:[1,0,1] neg_lo:[0,0,1] neg_hi:[0,0,1]
	v_mov_b32_e32 v30, v46
	v_mov_b32_e32 v31, v157
	v_pk_add_f32 v[20:21], v[30:31], v[20:21]
	v_pk_mul_f32 v[30:31], v[198:199], s[36:37] op_sel:[1,0] op_sel_hi:[0,0]
	v_accvgpr_write_b32 a41, v47
	v_pk_fma_f32 v[46:47], v[194:195], s[52:53], v[30:31] op_sel_hi:[1,0,1]
	v_pk_fma_f32 v[150:151], v[194:195], s[52:53], v[30:31] op_sel_hi:[1,0,1] neg_lo:[0,0,1] neg_hi:[0,0,1]
	v_mov_b32_e32 v30, v46
	v_mov_b32_e32 v31, v151
	s_mov_b32 s56, 0x3f4c4adb
	v_pk_add_f32 v[22:23], v[30:31], v[22:23]
	v_pk_mul_f32 v[30:31], v[240:241], s[56:57] op_sel:[1,0] op_sel_hi:[0,0]
	v_accvgpr_write_b32 a39, v47
	v_pk_fma_f32 v[46:47], v[238:239], s[24:25], v[30:31] op_sel_hi:[1,0,1]
	v_pk_fma_f32 v[168:169], v[238:239], s[24:25], v[30:31] op_sel_hi:[1,0,1] neg_lo:[0,0,1] neg_hi:[0,0,1]
	v_mov_b32_e32 v30, v46
	v_mov_b32_e32 v31, v169
	v_pk_add_f32 v[20:21], v[30:31], v[20:21]
	v_pk_mul_f32 v[30:31], v[240:241], s[28:29] op_sel:[1,0] op_sel_hi:[0,0]
	v_mov_b32_e32 v151, v47
	v_pk_fma_f32 v[46:47], v[238:239], s[54:55], v[30:31] op_sel_hi:[1,0,1]
	v_pk_fma_f32 v[160:161], v[238:239], s[54:55], v[30:31] op_sel_hi:[1,0,1] neg_lo:[0,0,1] neg_hi:[0,0,1]
	v_mov_b32_e32 v30, v46
	v_mov_b32_e32 v31, v161
	v_pk_add_f32 v[30:31], v[30:31], v[22:23]
	v_pk_mul_f32 v[22:23], v[236:237], s[42:43] op_sel:[1,0] op_sel_hi:[0,0]
	v_accvgpr_write_b32 a43, v47
	v_pk_fma_f32 v[46:47], v[234:235], s[40:41], v[22:23] op_sel_hi:[1,0,1]
	v_pk_fma_f32 v[176:177], v[234:235], s[40:41], v[22:23] op_sel_hi:[1,0,1] neg_lo:[0,0,1] neg_hi:[0,0,1]
	v_mov_b32_e32 v22, v46
	v_mov_b32_e32 v23, v177
	v_pk_add_f32 v[22:23], v[22:23], v[20:21]
	v_pk_mul_f32 v[20:21], v[236:237], s[14:15] op_sel:[1,0] op_sel_hi:[0,0]
	v_mov_b32_e32 v161, v47
	v_pk_fma_f32 v[46:47], v[234:235], s[24:25], v[20:21] op_sel_hi:[1,0,1]
	v_pk_fma_f32 v[164:165], v[234:235], s[24:25], v[20:21] op_sel_hi:[1,0,1] neg_lo:[0,0,1] neg_hi:[0,0,1]
	v_mov_b32_e32 v20, v46
	v_mov_b32_e32 v21, v165
	v_pk_mul_f32 v[246:247], v[44:45], s[46:47]
	v_pk_add_f32 v[20:21], v[20:21], v[30:31]
	v_pk_fma_f32 v[242:243], v[48:49], s[14:15], v[246:247]
	v_pk_fma_f32 v[30:31], v[48:49], s[14:15], v[246:247] neg_lo:[0,0,1] neg_hi:[0,0,1]
	v_pk_mul_f32 v[248:249], v[72:73], s[30:31]
	v_accvgpr_write_b32 a45, v47
	v_mov_b32_e32 v30, v242
	v_pk_fma_f32 v[244:245], v[58:59], s[22:23], v[248:249]
	v_pk_fma_f32 v[46:47], v[58:59], s[22:23], v[248:249] neg_lo:[0,0,1] neg_hi:[0,0,1]
	v_pk_add_f32 v[30:31], v[30:31], v[0:1]
	v_mov_b32_e32 v46, v244
	v_pk_add_f32 v[30:31], v[46:47], v[30:31]
	v_pk_mul_f32 v[46:47], v[124:125], s[28:29] op_sel_hi:[1,0]
	v_pk_fma_f32 v[252:253], v[138:139], s[34:35], v[28:29] op_sel_hi:[1,0,1]
	v_pk_fma_f32 v[250:251], v[122:123], s[54:55], v[46:47] op_sel:[0,0,1] op_sel_hi:[1,0,0]
	v_pk_fma_f32 v[170:171], v[122:123], s[54:55], v[46:47] op_sel:[0,0,1] op_sel_hi:[1,0,0] neg_lo:[0,0,1] neg_hi:[0,0,1]
	v_mov_b32_e32 v46, v250
	v_mov_b32_e32 v47, v171
	v_pk_fma_f32 v[178:179], v[138:139], s[34:35], v[28:29] op_sel_hi:[1,0,1] neg_lo:[0,0,1] neg_hi:[0,0,1]
	v_pk_add_f32 v[30:31], v[46:47], v[30:31]
	v_mov_b32_e32 v28, v252
	v_mov_b32_e32 v29, v179
	v_pk_add_f32 v[28:29], v[28:29], v[30:31]
	v_pk_mul_f32 v[30:31], v[180:181], s[36:37] op_sel:[1,0] op_sel_hi:[0,0]
	v_pk_fma_f32 v[254:255], v[172:173], s[52:53], v[30:31] op_sel_hi:[1,0,1]
	v_pk_fma_f32 v[182:183], v[172:173], s[52:53], v[30:31] op_sel_hi:[1,0,1] neg_lo:[0,0,1] neg_hi:[0,0,1]
	s_mov_b32 s46, s21
	s_mov_b32 s47, s44
	v_mov_b32_e32 v30, v254
	v_mov_b32_e32 v31, v183
	s_mov_b32 s58, s11
	s_mov_b32 s59, s38
	v_pk_mul_f32 v[78:79], v[44:45], s[46:47]
	v_pk_add_f32 v[28:29], v[30:31], v[28:29]
	v_pk_fma_f32 v[126:127], v[48:49], s[44:45], v[78:79]
	v_pk_fma_f32 v[30:31], v[48:49], s[44:45], v[78:79] neg_lo:[0,0,1] neg_hi:[0,0,1]
	v_pk_mul_f32 v[88:89], v[72:73], s[58:59]
	v_mov_b32_e32 v30, v126
	v_pk_fma_f32 v[132:133], v[58:59], s[38:39], v[88:89]
	v_pk_fma_f32 v[46:47], v[58:59], s[38:39], v[88:89] neg_lo:[0,0,1] neg_hi:[0,0,1]
	v_pk_add_f32 v[30:31], v[30:31], v[0:1]
	v_mov_b32_e32 v46, v132
	v_pk_add_f32 v[30:31], v[46:47], v[30:31]
	v_pk_mul_f32 v[46:47], v[124:125], s[6:7] op_sel_hi:[1,0]
	s_mov_b32 s46, s29
	v_pk_fma_f32 v[146:147], v[122:123], s[52:53], v[46:47] op_sel:[0,0,1] op_sel_hi:[1,0,0]
	v_pk_fma_f32 v[184:185], v[122:123], s[52:53], v[46:47] op_sel:[0,0,1] op_sel_hi:[1,0,0] neg_lo:[0,0,1] neg_hi:[0,0,1]
	v_mov_b32_e32 v46, v146
	v_mov_b32_e32 v47, v185
	v_pk_add_f32 v[30:31], v[46:47], v[30:31]
	v_pk_mul_f32 v[46:47], v[140:141], s[56:57] op_sel:[1,0] op_sel_hi:[0,0]
	v_pk_fma_f32 v[148:149], v[138:139], s[24:25], v[46:47] op_sel_hi:[1,0,1]
	v_pk_fma_f32 v[186:187], v[138:139], s[24:25], v[46:47] op_sel_hi:[1,0,1] neg_lo:[0,0,1] neg_hi:[0,0,1]
	v_mov_b32_e32 v46, v148
	v_mov_b32_e32 v47, v187
	v_pk_add_f32 v[30:31], v[46:47], v[30:31]
	v_pk_mul_f32 v[46:47], v[180:181], s[28:29] op_sel:[1,0] op_sel_hi:[0,0]
	v_pk_fma_f32 v[154:155], v[172:173], s[54:55], v[46:47] op_sel_hi:[1,0,1]
	v_pk_fma_f32 v[188:189], v[172:173], s[54:55], v[46:47] op_sel_hi:[1,0,1] neg_lo:[0,0,1] neg_hi:[0,0,1]
	;; [unrolled: 6-line block ×8, first 2 shown]
	v_mov_b32_e32 v28, v204
	v_mov_b32_e32 v29, v207
	s_mov_b32 s47, s28
	v_pk_add_f32 v[28:29], v[28:29], v[46:47]
	v_pk_mul_f32 v[46:47], v[96:97], s[0:1] op_sel:[1,0] op_sel_hi:[0,0]
	v_pk_mul_f32 v[114:115], v[44:45], s[46:47]
	v_pk_fma_f32 v[60:61], v[52:53], s[40:41], v[46:47] op_sel_hi:[1,0,1]
	v_pk_fma_f32 v[54:55], v[52:53], s[40:41], v[46:47] op_sel_hi:[1,0,1] neg_lo:[0,0,1] neg_hi:[0,0,1]
	v_pk_fma_f32 v[108:109], v[48:49], s[28:29], v[114:115]
	v_pk_fma_f32 v[46:47], v[48:49], s[28:29], v[114:115] neg_lo:[0,0,1] neg_hi:[0,0,1]
	v_mov_b32_e32 v52, v60
	v_mov_b32_e32 v46, v108
	v_pk_add_f32 v[46:47], v[46:47], v[0:1]
	v_mov_b32_e32 v53, v55
	v_pk_add_f32 v[46:47], v[52:53], v[46:47]
	v_pk_mul_f32 v[52:53], v[124:125], s[10:11] op_sel_hi:[1,0]
	s_mov_b32 s49, s29
	v_pk_fma_f32 v[74:75], v[122:123], s[50:51], v[52:53] op_sel:[0,0,1] op_sel_hi:[1,0,0]
	v_pk_fma_f32 v[66:67], v[122:123], s[50:51], v[52:53] op_sel:[0,0,1] op_sel_hi:[1,0,0] neg_lo:[0,0,1] neg_hi:[0,0,1]
	v_mov_b32_e32 v52, v74
	v_mov_b32_e32 v53, v67
	v_pk_add_f32 v[46:47], v[52:53], v[46:47]
	v_pk_mul_f32 v[52:53], v[140:141], s[6:7] op_sel:[1,0] op_sel_hi:[0,0]
	v_pk_fma_f32 v[82:83], v[138:139], s[52:53], v[52:53] op_sel_hi:[1,0,1]
	v_pk_fma_f32 v[80:81], v[138:139], s[52:53], v[52:53] op_sel_hi:[1,0,1] neg_lo:[0,0,1] neg_hi:[0,0,1]
	v_mov_b32_e32 v52, v82
	v_mov_b32_e32 v53, v81
	v_pk_add_f32 v[46:47], v[52:53], v[46:47]
	v_pk_mul_f32 v[52:53], v[180:181], s[18:19] op_sel:[1,0] op_sel_hi:[0,0]
	v_pk_fma_f32 v[90:91], v[172:173], s[30:31], v[52:53] op_sel_hi:[1,0,1]
	v_pk_fma_f32 v[84:85], v[172:173], s[30:31], v[52:53] op_sel_hi:[1,0,1] neg_lo:[0,0,1] neg_hi:[0,0,1]
	;; [unrolled: 6-line block ×6, first 2 shown]
	v_pk_mul_f32 v[46:47], v[124:125], s[44:45] op_sel_hi:[1,0]
	v_mul_lo_u16_e32 v62, 17, v51
	v_pk_fma_f32 v[238:239], v[122:123], s[34:35], v[46:47] op_sel:[0,0,1] op_sel_hi:[1,0,0]
	v_pk_fma_f32 v[122:123], v[122:123], s[34:35], v[46:47] op_sel:[0,0,1] op_sel_hi:[1,0,0] neg_lo:[0,0,1] neg_hi:[0,0,1]
	v_pk_mul_f32 v[46:47], v[140:141], s[42:43] op_sel:[1,0] op_sel_hi:[0,0]
	v_pk_fma_f32 v[124:125], v[138:139], s[40:41], v[46:47] op_sel_hi:[1,0,1]
	v_pk_fma_f32 v[166:167], v[138:139], s[40:41], v[46:47] op_sel_hi:[1,0,1] neg_lo:[0,0,1] neg_hi:[0,0,1]
	v_pk_mul_f32 v[46:47], v[180:181], s[14:15] op_sel:[1,0] op_sel_hi:[0,0]
	v_pk_fma_f32 v[138:139], v[172:173], s[24:25], v[46:47] op_sel_hi:[1,0,1]
	v_pk_fma_f32 v[174:175], v[172:173], s[24:25], v[46:47] op_sel_hi:[1,0,1] neg_lo:[0,0,1] neg_hi:[0,0,1]
	v_pk_mul_f32 v[46:47], v[198:199], s[38:39] op_sel:[1,0] op_sel_hi:[0,0]
	v_pk_mul_f32 v[172:173], v[44:45], s[26:27]
	s_mov_b32 s24, s29
	s_mov_b32 s25, s48
	v_pk_fma_f32 v[198:199], v[194:195], s[50:51], v[46:47] op_sel_hi:[1,0,1]
	v_pk_fma_f32 v[140:141], v[194:195], s[50:51], v[46:47] op_sel_hi:[1,0,1] neg_lo:[0,0,1] neg_hi:[0,0,1]
	v_pk_mul_f32 v[180:181], v[72:73], s[24:25]
	v_pk_fma_f32 v[46:47], v[48:49], s[16:17], v[172:173]
	v_pk_fma_f32 v[44:45], v[48:49], s[16:17], v[172:173] neg_lo:[0,0,1] neg_hi:[0,0,1]
	v_pk_fma_f32 v[194:195], v[58:59], s[48:49], v[180:181]
	v_mov_b32_e32 v44, v46
	v_pk_fma_f32 v[72:73], v[58:59], s[48:49], v[180:181] neg_lo:[0,0,1] neg_hi:[0,0,1]
	v_pk_add_f32 v[44:45], v[44:45], v[0:1]
	v_mov_b32_e32 v72, v194
	v_pk_add_f32 v[44:45], v[72:73], v[44:45]
	v_mov_b32_e32 v72, v238
	v_mov_b32_e32 v73, v123
	v_pk_add_f32 v[44:45], v[72:73], v[44:45]
	v_mov_b32_e32 v72, v124
	;; [unrolled: 3-line block ×5, first 2 shown]
	v_mov_b32_e32 v73, v97
	v_pk_add_f32 v[44:45], v[72:73], v[44:45]
	v_pk_mul_f32 v[72:73], v[236:237], s[36:37] op_sel:[1,0] op_sel_hi:[0,0]
	v_pk_fma_f32 v[236:237], v[234:235], s[52:53], v[72:73] op_sel_hi:[1,0,1]
	v_pk_fma_f32 v[72:73], v[234:235], s[52:53], v[72:73] op_sel_hi:[1,0,1] neg_lo:[0,0,1] neg_hi:[0,0,1]
	v_mov_b32_e32 v234, v236
	v_mov_b32_e32 v235, v73
	v_pk_add_f32 v[44:45], v[234:235], v[44:45]
	s_barrier
	s_and_saveexec_b64 s[24:25], vcc
	s_cbranch_execz .LBB0_7
; %bb.6:
	v_pk_add_f32 v[2:3], v[2:3], v[0:1]
	v_mov_b32_e32 v185, v147
	v_pk_add_f32 v[2:3], v[36:37], v[2:3]
	v_accvgpr_read_b32 v147, a19
	v_pk_add_f32 v[2:3], v[38:39], v[2:3]
	v_mov_b32_e32 v175, v139
	v_pk_add_f32 v[2:3], v[24:25], v[2:3]
	v_mov_b32_e32 v187, v149
	v_pk_add_f32 v[2:3], v[26:27], v[2:3]
	v_pk_mul_f32 v[138:139], v[48:49], s[10:11]
	v_pk_add_f32 v[2:3], v[8:9], v[2:3]
	v_accvgpr_read_b32 v146, a18
	v_pk_add_f32 v[2:3], v[10:11], v[2:3]
	v_accvgpr_read_b32 v149, a27
	v_pk_add_f32 v[2:3], v[4:5], v[2:3]
	v_pk_add_f32 v[138:139], v[146:147], v[138:139] neg_lo:[0,1] neg_hi:[0,1]
	v_pk_add_f32 v[2:3], v[6:7], v[2:3]
	v_pk_mul_f32 v[146:147], v[58:59], s[14:15]
	v_pk_add_f32 v[2:3], v[12:13], v[2:3]
	v_accvgpr_read_b32 v148, a26
	v_pk_add_f32 v[2:3], v[14:15], v[2:3]
	v_pk_add_f32 v[146:147], v[148:149], v[146:147] neg_lo:[0,1] neg_hi:[0,1]
	v_pk_add_f32 v[2:3], v[32:33], v[2:3]
	v_pk_mul_f32 v[148:149], v[48:49], s[28:29]
	v_pk_add_f32 v[2:3], v[34:35], v[2:3]
	v_pk_add_f32 v[114:115], v[114:115], v[148:149] neg_lo:[0,1] neg_hi:[0,1]
	v_pk_add_f32 v[2:3], v[40:41], v[2:3]
	v_accvgpr_read_b32 v4, a4
	v_pk_mul_f32 v[234:235], v[48:49], s[16:17]
	v_mov_b32_e32 v115, v109
	v_pk_add_f32 v[2:3], v[42:43], v[2:3]
	v_accvgpr_read_b32 v5, a5
	v_pk_add_f32 v[172:173], v[172:173], v[234:235] neg_lo:[0,1] neg_hi:[0,1]
	v_pk_add_f32 v[2:3], v[4:5], v[2:3]
	v_pk_add_f32 v[4:5], v[114:115], v[0:1]
	v_mov_b32_e32 v55, v61
	v_mov_b32_e32 v173, v47
	v_pk_mul_f32 v[46:47], v[58:59], s[48:49]
	v_pk_add_f32 v[4:5], v[54:55], v[4:5]
	v_mov_b32_e32 v67, v75
	v_pk_add_f32 v[180:181], v[180:181], v[46:47] neg_lo:[0,1] neg_hi:[0,1]
	v_pk_mul_f32 v[46:47], v[48:49], s[44:45]
	v_pk_add_f32 v[4:5], v[66:67], v[4:5]
	v_mov_b32_e32 v81, v83
	v_pk_add_f32 v[46:47], v[78:79], v[46:47] neg_lo:[0,1] neg_hi:[0,1]
	v_pk_mul_f32 v[78:79], v[58:59], s[38:39]
	v_mov_b32_e32 v189, v155
	v_accvgpr_read_b32 v155, a9
	v_pk_add_f32 v[4:5], v[80:81], v[4:5]
	v_mov_b32_e32 v85, v91
	v_mov_b32_e32 v47, v127
	v_pk_add_f32 v[78:79], v[88:89], v[78:79] neg_lo:[0,1] neg_hi:[0,1]
	v_pk_mul_f32 v[88:89], v[48:49], s[14:15]
	v_mov_b32_e32 v193, v119
	v_pk_mul_f32 v[118:119], v[48:49], s[18:19]
	v_pk_mul_f32 v[126:127], v[48:49], s[6:7]
	;; [unrolled: 1-line block ×3, first 2 shown]
	v_accvgpr_read_b32 v154, a8
	v_pk_add_f32 v[4:5], v[84:85], v[4:5]
	v_mov_b32_e32 v93, v99
	v_pk_add_f32 v[48:49], v[154:155], v[48:49] neg_lo:[0,1] neg_hi:[0,1]
	v_accvgpr_read_b32 v155, a13
	v_pk_add_f32 v[4:5], v[92:93], v[4:5]
	v_mov_b32_e32 v57, v63
	v_mov_b32_e32 v167, v125
	;; [unrolled: 1-line block ×3, first 2 shown]
	v_pk_mul_f32 v[124:125], v[58:59], s[22:23]
	v_pk_add_f32 v[112:113], v[112:113], v[118:119] neg_lo:[0,1] neg_hi:[0,1]
	v_pk_mul_f32 v[118:119], v[58:59], s[20:21]
	v_pk_mul_f32 v[132:133], v[58:59], s[16:17]
	;; [unrolled: 1-line block ×3, first 2 shown]
	v_accvgpr_read_b32 v154, a12
	v_pk_add_f32 v[4:5], v[56:57], v[4:5]
	v_mov_b32_e32 v103, v105
	v_accvgpr_read_b32 v139, a21
	v_accvgpr_read_b32 v49, a7
	v_pk_add_f32 v[58:59], v[154:155], v[58:59] neg_lo:[0,1] neg_hi:[0,1]
	v_add_lshl_u32 v24, v50, v62, 3
	v_pk_add_f32 v[4:5], v[102:103], v[4:5]
	v_accvgpr_read_b32 v147, a23
	v_accvgpr_read_b32 v59, a11
	ds_write2_b64 v24, v[2:3], v[4:5] offset1:1
	v_pk_add_f32 v[2:3], v[48:49], v[0:1]
	v_pk_add_f32 v[4:5], v[138:139], v[0:1]
	v_mov_b32_e32 v71, v65
	v_mov_b32_e32 v65, v69
	v_pk_add_f32 v[2:3], v[58:59], v[2:3]
	v_accvgpr_read_b32 v69, a15
	v_pk_add_f32 v[4:5], v[146:147], v[4:5]
	v_pk_add_f32 v[2:3], v[68:69], v[2:3]
	v_accvgpr_read_b32 v87, a25
	v_mov_b32_e32 v101, v77
	v_pk_add_f32 v[4:5], v[64:65], v[4:5]
	v_accvgpr_read_b32 v77, a17
	v_pk_add_f32 v[2:3], v[86:87], v[2:3]
	v_mov_b32_e32 v111, v95
	v_pk_add_f32 v[4:5], v[76:77], v[4:5]
	v_accvgpr_read_b32 v95, a29
	v_pk_add_f32 v[2:3], v[100:101], v[2:3]
	;; [unrolled: 4-line block ×3, first 2 shown]
	v_mov_b32_e32 v135, v117
	v_pk_add_f32 v[4:5], v[106:107], v[4:5]
	v_accvgpr_read_b32 v117, a33
	v_pk_add_f32 v[126:127], v[212:213], v[126:127] neg_lo:[0,1] neg_hi:[0,1]
	v_pk_add_f32 v[2:3], v[120:121], v[2:3]
	v_pk_add_f32 v[4:5], v[116:117], v[4:5]
	v_accvgpr_read_b32 v129, a35
	v_mov_b32_e32 v113, v223
	v_pk_add_f32 v[118:119], v[226:227], v[118:119] neg_lo:[0,1] neg_hi:[0,1]
	v_mov_b32_e32 v127, v209
	v_pk_add_f32 v[132:133], v[214:215], v[132:133] neg_lo:[0,1] neg_hi:[0,1]
	v_pk_add_f32 v[2:3], v[134:135], v[2:3]
	v_pk_add_f32 v[4:5], v[128:129], v[4:5]
	v_mov_b32_e32 v119, v225
	v_mov_b32_e32 v133, v211
	ds_write2_b64 v24, v[2:3], v[4:5] offset0:2 offset1:3
	v_pk_add_f32 v[2:3], v[126:127], v[0:1]
	v_pk_add_f32 v[4:5], v[112:113], v[0:1]
	v_mov_b32_e32 v131, v229
	v_pk_add_f32 v[2:3], v[132:133], v[2:3]
	v_pk_add_f32 v[4:5], v[118:119], v[4:5]
	v_mov_b32_e32 v137, v231
	v_mov_b32_e32 v145, v221
	v_pk_add_f32 v[2:3], v[70:71], v[2:3]
	v_pk_add_f32 v[4:5], v[130:131], v[4:5]
	v_mov_b32_e32 v143, v233
	v_pk_add_f32 v[2:3], v[144:145], v[2:3]
	v_accvgpr_read_b32 v153, a37
	v_pk_add_f32 v[4:5], v[136:137], v[4:5]
	v_pk_add_f32 v[2:3], v[152:153], v[2:3]
	v_accvgpr_read_b32 v157, a41
	v_mov_b32_e32 v169, v151
	v_pk_add_f32 v[4:5], v[142:143], v[4:5]
	v_accvgpr_read_b32 v151, a39
	v_pk_add_f32 v[2:3], v[156:157], v[2:3]
	v_mov_b32_e32 v177, v161
	v_pk_add_f32 v[4:5], v[150:151], v[4:5]
	v_accvgpr_read_b32 v161, a43
	v_pk_add_f32 v[88:89], v[246:247], v[88:89] neg_lo:[0,1] neg_hi:[0,1]
	v_pk_add_f32 v[2:3], v[168:169], v[2:3]
	v_pk_add_f32 v[4:5], v[160:161], v[4:5]
	v_accvgpr_read_b32 v165, a45
	v_mov_b32_e32 v89, v243
	v_pk_add_f32 v[124:125], v[248:249], v[124:125] neg_lo:[0,1] neg_hi:[0,1]
	v_pk_add_f32 v[2:3], v[176:177], v[2:3]
	v_pk_add_f32 v[4:5], v[164:165], v[4:5]
	v_mov_b32_e32 v181, v195
	v_mov_b32_e32 v125, v245
	ds_write2_b64 v24, v[2:3], v[4:5] offset0:4 offset1:5
	v_pk_add_f32 v[2:3], v[88:89], v[0:1]
	v_pk_add_f32 v[4:5], v[46:47], v[0:1]
	;; [unrolled: 1-line block ×3, first 2 shown]
	v_mov_b32_e32 v123, v239
	v_mov_b32_e32 v171, v251
	v_pk_add_f32 v[2:3], v[124:125], v[2:3]
	v_pk_add_f32 v[4:5], v[78:79], v[4:5]
	v_pk_add_f32 v[0:1], v[180:181], v[0:1]
	v_mov_b32_e32 v179, v253
	v_pk_add_f32 v[2:3], v[170:171], v[2:3]
	v_pk_add_f32 v[4:5], v[184:185], v[4:5]
	v_pk_add_f32 v[0:1], v[122:123], v[0:1]
	v_mov_b32_e32 v183, v255
	v_pk_add_f32 v[2:3], v[178:179], v[2:3]
	v_pk_add_f32 v[4:5], v[186:187], v[4:5]
	v_pk_add_f32 v[0:1], v[166:167], v[0:1]
	v_mov_b32_e32 v141, v199
	v_mov_b32_e32 v191, v159
	v_pk_add_f32 v[2:3], v[182:183], v[2:3]
	v_pk_add_f32 v[4:5], v[188:189], v[4:5]
	;; [unrolled: 1-line block ×3, first 2 shown]
	v_mov_b32_e32 v97, v241
	v_mov_b32_e32 v197, v163
	v_pk_add_f32 v[2:3], v[192:193], v[2:3]
	v_mov_b32_e32 v203, v201
	v_pk_add_f32 v[4:5], v[190:191], v[4:5]
	v_pk_add_f32 v[0:1], v[140:141], v[0:1]
	v_mov_b32_e32 v73, v237
	v_pk_add_f32 v[2:3], v[202:203], v[2:3]
	v_mov_b32_e32 v219, v217
	;; [unrolled: 2-line block ×3, first 2 shown]
	v_pk_add_f32 v[0:1], v[96:97], v[0:1]
	v_pk_add_f32 v[2:3], v[218:219], v[2:3]
	;; [unrolled: 1-line block ×4, first 2 shown]
	ds_write2_b64 v24, v[2:3], v[4:5] offset0:6 offset1:7
	ds_write2_b64 v24, v[0:1], v[44:45] offset0:8 offset1:9
	;; [unrolled: 1-line block ×5, first 2 shown]
	ds_write_b64 v24, v[52:53] offset:128
.LBB0_7:
	s_or_b64 exec, exec, s[24:25]
	v_lshlrev_b32_e32 v24, 6, v51
	s_load_dwordx4 s[0:3], s[2:3], 0x0
	s_waitcnt lgkmcnt(0)
	s_barrier
	global_load_dwordx4 v[8:11], v24, s[4:5] offset:16
	global_load_dwordx4 v[4:7], v24, s[4:5] offset:32
	global_load_dwordx4 v[12:15], v24, s[4:5]
	global_load_dwordx4 v[0:3], v24, s[4:5] offset:48
	v_add_lshl_u32 v222, v50, v51, 3
	ds_read2_b64 v[24:27], v222 offset0:34 offset1:51
	ds_read2_b64 v[32:35], v222 offset0:68 offset1:85
	ds_read2_b64 v[36:39], v222 offset0:102 offset1:119
	ds_read2_b64 v[40:43], v222 offset1:17
	ds_read_b64 v[46:47], v222 offset:1088
	s_mov_b32 s20, 0x3f248dbb
	s_mov_b32 s4, 0x3f5db3d7
	;; [unrolled: 1-line block ×9, first 2 shown]
	s_waitcnt vmcnt(3)
	v_mov_b32_e32 v48, v9
	s_waitcnt vmcnt(2) lgkmcnt(3)
	v_pk_mul_f32 v[58:59], v[34:35], v[4:5] op_sel:[1,0] op_sel_hi:[0,1]
	s_waitcnt vmcnt(1) lgkmcnt(1)
	v_pk_mul_f32 v[64:65], v[42:43], v[12:13] op_sel:[0,1]
	v_mov_b32_e32 v66, v15
	s_waitcnt vmcnt(0)
	v_pk_mul_f32 v[68:69], v[38:39], v[0:1] op_sel:[0,1]
	v_mov_b32_e32 v70, v3
	v_pk_mul_f32 v[54:55], v[26:27], v[8:9] op_sel:[1,0] op_sel_hi:[0,1]
	v_mov_b32_e32 v56, v5
	v_mov_b32_e32 v58, v7
	v_pk_mul_f32 v[60:61], v[36:37], v[6:7] op_sel:[1,0] op_sel_hi:[0,1]
	v_mov_b32_e32 v72, v11
	v_pk_fma_f32 v[74:75], v[42:43], v[12:13], v[64:65] op_sel:[0,0,1] op_sel_hi:[1,1,0] neg_lo:[0,0,1] neg_hi:[0,0,1]
	v_pk_fma_f32 v[42:43], v[42:43], v[12:13], v[64:65] op_sel:[0,0,1] op_sel_hi:[1,0,0]
	v_pk_mul_f32 v[64:65], v[24:25], v[66:67] op_sel_hi:[1,0]
	v_pk_fma_f32 v[66:67], v[38:39], v[0:1], v[68:69] op_sel:[0,0,1] op_sel_hi:[1,1,0] neg_lo:[0,0,1] neg_hi:[0,0,1]
	v_pk_fma_f32 v[38:39], v[38:39], v[0:1], v[68:69] op_sel:[0,0,1] op_sel_hi:[1,0,0]
	s_waitcnt lgkmcnt(0)
	v_pk_mul_f32 v[68:69], v[46:47], v[70:71] op_sel_hi:[1,0]
	v_pk_mul_f32 v[48:49], v[26:27], v[48:49] op_sel:[1,0] op_sel_hi:[0,1]
	v_mov_b32_e32 v55, v54
	v_pk_mul_f32 v[56:57], v[34:35], v[56:57] op_sel:[1,0] op_sel_hi:[0,1]
	v_mov_b32_e32 v54, v59
	;; [unrolled: 2-line block ×3, first 2 shown]
	v_pk_mul_f32 v[70:71], v[32:33], v[72:73] op_sel_hi:[1,0]
	v_mov_b32_e32 v75, v43
	v_pk_fma_f32 v[42:43], v[24:25], v[14:15], v[64:65] op_sel:[0,0,1] op_sel_hi:[1,1,0] neg_lo:[0,0,1] neg_hi:[0,0,1]
	v_pk_fma_f32 v[24:25], v[24:25], v[14:15], v[64:65] op_sel:[0,0,1] op_sel_hi:[1,0,0]
	v_mov_b32_e32 v67, v39
	v_pk_fma_f32 v[38:39], v[46:47], v[2:3], v[68:69] op_sel:[0,0,1] op_sel_hi:[1,1,0] neg_lo:[0,0,1] neg_hi:[0,0,1]
	v_pk_fma_f32 v[46:47], v[46:47], v[2:3], v[68:69] op_sel:[0,0,1] op_sel_hi:[1,0,0]
	v_pk_fma_f32 v[48:49], v[26:27], v[8:9], v[48:49] neg_lo:[0,0,1] neg_hi:[0,0,1]
	v_pk_fma_f32 v[26:27], v[26:27], v[8:9], v[54:55] op_sel:[1,0,0] op_sel_hi:[0,1,1]
	v_pk_fma_f32 v[56:57], v[34:35], v[4:5], v[56:57] neg_lo:[0,0,1] neg_hi:[0,0,1]
	;; [unrolled: 2-line block ×3, first 2 shown]
	v_pk_fma_f32 v[36:37], v[36:37], v[6:7], v[60:61] op_sel:[1,0,0] op_sel_hi:[0,1,1]
	v_pk_fma_f32 v[58:59], v[32:33], v[10:11], v[70:71] op_sel:[0,0,1] op_sel_hi:[1,1,0] neg_lo:[0,0,1] neg_hi:[0,0,1]
	v_pk_fma_f32 v[32:33], v[32:33], v[10:11], v[70:71] op_sel:[0,0,1] op_sel_hi:[1,0,0]
	v_mov_b32_e32 v43, v25
	v_mov_b32_e32 v39, v47
	;; [unrolled: 1-line block ×6, first 2 shown]
	v_pk_add_f32 v[64:65], v[74:75], v[38:39] neg_lo:[0,1] neg_hi:[0,1]
	v_pk_add_f32 v[32:33], v[42:43], v[66:67] neg_lo:[0,1] neg_hi:[0,1]
	v_mov_b32_e32 v55, v56
	v_mov_b32_e32 v25, v58
	v_pk_add_f32 v[46:47], v[48:49], v[34:35]
	v_pk_add_f32 v[26:27], v[48:49], v[34:35] neg_lo:[0,1] neg_hi:[0,1]
	v_mov_b32_e32 v34, v33
	v_mov_b32_e32 v35, v64
	v_pk_add_f32 v[48:49], v[74:75], v[38:39]
	v_pk_add_f32 v[60:61], v[42:43], v[66:67]
	v_pk_add_f32 v[38:39], v[24:25], v[54:55] neg_lo:[0,1] neg_hi:[0,1]
	v_pk_add_f32 v[66:67], v[24:25], v[54:55]
	v_pk_mul_f32 v[24:25], v[26:27], s[4:5] op_sel_hi:[1,0]
	v_mov_b32_e32 v26, v65
	v_mov_b32_e32 v27, v32
	v_pk_mul_f32 v[34:35], v[34:35], s[18:19]
	v_pk_fma_f32 v[36:37], v[48:49], s[6:7], v[40:41] op_sel_hi:[1,0,1]
	v_pk_fma_f32 v[26:27], v[26:27], s[20:21], v[34:35]
	v_pk_fma_f32 v[36:37], v[60:61], s[10:11], v[36:37] op_sel_hi:[1,0,1]
	v_pk_add_f32 v[26:27], v[24:25], v[26:27] op_sel:[1,0] op_sel_hi:[0,1]
	s_mov_b32 s20, 0xbf248dbb
	v_pk_fma_f32 v[34:35], v[46:47], 0.5, v[36:37] op_sel_hi:[1,0,1] neg_lo:[1,0,0] neg_hi:[1,0,0]
	v_pk_fma_f32 v[36:37], v[38:39], s[16:17], v[26:27] op_sel_hi:[1,0,1]
	v_pk_mul_f32 v[26:27], v[38:39], s[20:21] op_sel_hi:[1,0]
	v_mul_f32_e32 v42, 0x3f7c1c5c, v39
	v_pk_fma_f32 v[26:27], v[64:65], s[18:19], v[26:27] op_sel:[1,0,0] op_sel_hi:[0,0,1]
	v_mul_f32_e32 v43, 0x3f7c1c5c, v38
	v_pk_add_f32 v[26:27], v[26:27], v[24:25] op_sel:[0,1] op_sel_hi:[1,0] neg_lo:[0,1] neg_hi:[0,1]
	v_pk_add_f32 v[68:69], v[60:61], v[48:49]
	v_pk_fma_f32 v[70:71], v[32:33], s[16:17], v[26:27] op_sel:[1,0,0] op_sel_hi:[0,0,1]
	v_fma_f32 v26, v32, s20, -v42
	v_fma_f32 v27, v33, s20, -v43
	v_add_f32_e32 v73, v24, v26
	v_add_f32_e32 v72, v25, v27
	v_pk_fma_f32 v[24:25], v[66:67], s[14:15], v[34:35] op_sel:[1,0,0] op_sel_hi:[0,0,1] neg_lo:[1,0,0] neg_hi:[1,0,0]
	v_pk_add_f32 v[26:27], v[24:25], v[36:37]
	v_pk_add_f32 v[42:43], v[24:25], v[36:37] neg_lo:[0,1] neg_hi:[0,1]
	v_pk_fma_f32 v[24:25], v[66:67], s[6:7], v[40:41] op_sel:[1,0,0] op_sel_hi:[0,0,1]
	v_pk_fma_f32 v[24:25], v[48:49], s[10:11], v[24:25] op_sel_hi:[1,0,1]
	v_mov_b32_e32 v42, v26
	v_pk_fma_f32 v[24:25], v[46:47], 0.5, v[24:25] op_sel_hi:[1,0,1] neg_lo:[1,0,0] neg_hi:[1,0,0]
	v_mov_b32_e32 v27, v43
	v_pk_fma_f32 v[24:25], v[60:61], s[14:15], v[24:25] op_sel_hi:[1,0,1] neg_lo:[1,0,0] neg_hi:[1,0,0]
	v_fmac_f32_e32 v42, -2.0, v36
	v_fmac_f32_e32 v43, 2.0, v37
	v_pk_add_f32 v[36:37], v[24:25], v[70:71]
	v_pk_add_f32 v[34:35], v[24:25], v[70:71] neg_lo:[0,1] neg_hi:[0,1]
	v_pk_add_f32 v[24:25], v[38:39], v[64:65] op_sel:[0,1] op_sel_hi:[1,0]
	v_pk_add_f32 v[38:39], v[66:67], v[68:69] op_sel:[1,0] op_sel_hi:[0,1]
	v_pk_add_f32 v[68:69], v[46:47], v[68:69]
	v_pk_add_f32 v[24:25], v[24:25], v[32:33] op_sel:[0,1] op_sel_hi:[1,0] neg_lo:[0,1] neg_hi:[0,1]
	v_pk_add_f32 v[58:59], v[58:59], v[68:69]
	v_pk_add_f32 v[68:69], v[46:47], v[40:41]
	v_mov_b32_e32 v34, v36
	v_pk_fma_f32 v[38:39], v[38:39], 0.5, v[68:69] op_sel_hi:[1,0,1] neg_lo:[1,0,0] neg_hi:[1,0,0]
	v_pk_mul_f32 v[32:33], v[24:25], s[4:5] op_sel_hi:[1,0]
	v_pk_fma_f32 v[68:69], v[24:25], s[4:5], v[38:39] op_sel_hi:[1,0,1]
	v_pk_fma_f32 v[24:25], v[24:25], s[4:5], v[38:39] op_sel_hi:[1,0,1] neg_lo:[1,0,0] neg_hi:[1,0,0]
	v_mov_b32_e32 v37, v35
	v_fmac_f32_e32 v34, -2.0, v70
	v_fmac_f32_e32 v35, 2.0, v71
	v_add_f32_e32 v32, v32, v32
	v_add_f32_e32 v71, v33, v33
	v_mov_b32_e32 v70, v68
	v_mov_b32_e32 v33, v25
	;; [unrolled: 1-line block ×3, first 2 shown]
	v_pk_add_f32 v[32:33], v[68:69], v[32:33] neg_lo:[0,1] neg_hi:[0,1]
	v_pk_add_f32 v[24:25], v[70:71], v[24:25]
	v_mov_b32_e32 v57, v54
	v_mov_b32_e32 v33, v25
	v_pk_add_f32 v[24:25], v[56:57], v[58:59]
	v_pk_fma_f32 v[64:65], v[64:65], s[16:17], v[72:73] op_sel:[1,0,0] op_sel_hi:[0,0,1]
	v_pk_add_f32 v[24:25], v[24:25], v[40:41]
	v_pk_fma_f32 v[40:41], v[60:61], s[6:7], v[40:41] op_sel_hi:[1,0,1]
	v_add_f32_e32 v57, v65, v65
	v_pk_fma_f32 v[40:41], v[66:67], s[10:11], v[40:41] op_sel:[1,0,0] op_sel_hi:[0,0,1]
	v_pk_fma_f32 v[40:41], v[46:47], 0.5, v[40:41] op_sel_hi:[1,0,1] neg_lo:[1,0,0] neg_hi:[1,0,0]
	v_add_f32_e32 v54, v64, v64
	v_pk_fma_f32 v[40:41], v[48:49], s[14:15], v[40:41] op_sel_hi:[1,0,1] neg_lo:[1,0,0] neg_hi:[1,0,0]
	v_mov_b32_e32 v38, v68
	v_pk_add_f32 v[48:49], v[40:41], v[64:65]
	v_pk_add_f32 v[40:41], v[40:41], v[64:65] neg_lo:[0,1] neg_hi:[0,1]
	v_mov_b32_e32 v56, v48
	v_mov_b32_e32 v47, v41
	;; [unrolled: 1-line block ×3, first 2 shown]
	v_pk_add_f32 v[40:41], v[56:57], v[40:41]
	v_mov_b32_e32 v46, v48
	v_pk_add_f32 v[48:49], v[48:49], v[54:55] neg_lo:[0,1] neg_hi:[0,1]
	v_accvgpr_read_b32 v40, a3
	v_mov_b32_e32 v49, v41
	v_lshl_add_u32 v223, v51, 3, v40
	ds_write2_b64 v223, v[24:25], v[26:27] offset1:17
	ds_write2_b64 v223, v[36:37], v[38:39] offset0:34 offset1:51
	ds_write2_b64 v223, v[46:47], v[48:49] offset0:68 offset1:85
	;; [unrolled: 1-line block ×3, first 2 shown]
	ds_write_b64 v223, v[42:43] offset:1088
	s_waitcnt lgkmcnt(0)
	s_barrier
	s_and_saveexec_b64 s[4:5], vcc
	s_cbranch_execz .LBB0_9
; %bb.8:
	v_accvgpr_read_b32 v50, a0
	global_load_dwordx2 v[40:41], v50, s[8:9] offset:1224
	s_add_u32 s6, s8, 0x4c8
	s_addc_u32 s7, s9, 0
	global_load_dwordx2 v[84:85], v50, s[6:7] offset:72
	global_load_dwordx2 v[86:87], v50, s[6:7] offset:144
	global_load_dwordx2 v[88:89], v50, s[6:7] offset:216
	global_load_dwordx2 v[90:91], v50, s[6:7] offset:288
	global_load_dwordx2 v[92:93], v50, s[6:7] offset:360
	global_load_dwordx2 v[94:95], v50, s[6:7] offset:432
	global_load_dwordx2 v[96:97], v50, s[6:7] offset:504
	global_load_dwordx2 v[98:99], v50, s[6:7] offset:576
	global_load_dwordx2 v[100:101], v50, s[6:7] offset:648
	global_load_dwordx2 v[102:103], v50, s[6:7] offset:720
	global_load_dwordx2 v[104:105], v50, s[6:7] offset:792
	global_load_dwordx2 v[106:107], v50, s[6:7] offset:864
	global_load_dwordx2 v[108:109], v50, s[6:7] offset:936
	global_load_dwordx2 v[110:111], v50, s[6:7] offset:1008
	global_load_dwordx2 v[112:113], v50, s[6:7] offset:1080
	ds_read2_b64 v[54:57], v223 offset1:9
	ds_read2_b64 v[58:61], v223 offset0:18 offset1:27
	global_load_dwordx2 v[114:115], v50, s[6:7] offset:1152
	ds_read2_b64 v[64:67], v223 offset0:36 offset1:45
	ds_read2_b64 v[68:71], v223 offset0:54 offset1:63
	;; [unrolled: 1-line block ×5, first 2 shown]
	v_mov_b32_e32 v125, v51
	s_waitcnt vmcnt(13) lgkmcnt(5)
	v_mul_f32_e32 v51, v61, v89
	s_waitcnt vmcnt(12) lgkmcnt(4)
	v_mul_f32_e32 v63, v65, v91
	s_waitcnt vmcnt(11)
	v_mul_f32_e32 v118, v67, v93
	s_waitcnt vmcnt(10) lgkmcnt(3)
	v_mul_f32_e32 v119, v69, v95
	s_waitcnt vmcnt(9)
	;; [unrolled: 4-line block ×4, first 2 shown]
	v_mul_f32_e32 v124, v79, v105
	v_mul_f32_e32 v50, v55, v41
	;; [unrolled: 1-line block ×3, first 2 shown]
	v_fma_f32 v116, v54, v40, -v50
	v_fmac_f32_e32 v117, v55, v40
	v_mul_f32_e32 v40, v57, v85
	v_mul_f32_e32 v41, v56, v85
	;; [unrolled: 1-line block ×13, first 2 shown]
	v_fma_f32 v40, v56, v84, -v40
	v_fmac_f32_e32 v41, v57, v84
	v_fma_f32 v54, v58, v86, -v50
	v_fmac_f32_e32 v55, v59, v86
	;; [unrolled: 2-line block ×11, first 2 shown]
	ds_write2_b64 v223, v[116:117], v[40:41] offset1:9
	ds_write2_b64 v223, v[54:55], v[84:85] offset0:18 offset1:27
	ds_write2_b64 v223, v[86:87], v[88:89] offset0:36 offset1:45
	;; [unrolled: 1-line block ×5, first 2 shown]
	ds_read2_b64 v[54:57], v223 offset0:126 offset1:135
	s_waitcnt vmcnt(4) lgkmcnt(7)
	v_mul_f32_e32 v105, v81, v107
	v_mul_f32_e32 v103, v80, v107
	s_waitcnt vmcnt(3)
	v_mul_f32_e32 v107, v83, v109
	v_mul_f32_e32 v41, v82, v109
	v_fma_f32 v102, v80, v106, -v105
	v_fmac_f32_e32 v103, v81, v106
	v_fma_f32 v40, v82, v108, -v107
	v_fmac_f32_e32 v41, v83, v108
	ds_write2_b64 v223, v[102:103], v[40:41] offset0:108 offset1:117
	s_waitcnt vmcnt(2) lgkmcnt(1)
	v_mul_f32_e32 v40, v55, v111
	v_mul_f32_e32 v41, v54, v111
	v_fma_f32 v40, v54, v110, -v40
	v_fmac_f32_e32 v41, v55, v110
	ds_read_b64 v[54:55], v223 offset:1152
	s_waitcnt vmcnt(1)
	v_mul_f32_e32 v50, v57, v113
	v_mul_f32_e32 v59, v56, v113
	v_fma_f32 v58, v56, v112, -v50
	v_fmac_f32_e32 v59, v57, v112
	ds_write2_b64 v223, v[40:41], v[58:59] offset0:126 offset1:135
	s_waitcnt vmcnt(0) lgkmcnt(1)
	v_mul_f32_e32 v40, v55, v115
	v_mul_f32_e32 v41, v54, v115
	v_mov_b32_e32 v51, v125
	v_accvgpr_read_b32 v50, a1
	v_fma_f32 v40, v54, v114, -v40
	v_fmac_f32_e32 v41, v55, v114
	ds_write_b64 v223, v[40:41] offset:1152
.LBB0_9:
	s_or_b64 exec, exec, s[4:5]
	s_waitcnt lgkmcnt(0)
	s_barrier
	s_and_saveexec_b64 s[4:5], vcc
	s_cbranch_execz .LBB0_11
; %bb.10:
	ds_read2_b64 v[24:27], v223 offset1:9
	ds_read2_b64 v[36:39], v223 offset0:18 offset1:27
	ds_read2_b64 v[46:49], v223 offset0:36 offset1:45
	;; [unrolled: 1-line block ×7, first 2 shown]
	ds_read_b64 v[52:53], v223 offset:1152
.LBB0_11:
	s_or_b64 exec, exec, s[4:5]
	v_mov_b32_e32 v58, v12
	v_mov_b32_e32 v59, v12
	;; [unrolled: 1-line block ×15, first 2 shown]
	s_waitcnt lgkmcnt(0)
	s_barrier
	s_and_saveexec_b64 s[4:5], vcc
	s_cbranch_execz .LBB0_13
; %bb.12:
	v_pk_add_f32 v[64:65], v[26:27], v[24:25]
	v_accvgpr_read_b32 v50, a3
	v_pk_add_f32 v[64:65], v[36:37], v[64:65]
	v_lshl_add_u32 v50, v62, 3, v50
	v_pk_add_f32 v[64:65], v[38:39], v[64:65]
	v_pk_add_f32 v[156:157], v[26:27], v[52:53] neg_lo:[0,1] neg_hi:[0,1]
	v_pk_add_f32 v[64:65], v[46:47], v[64:65]
	s_mov_b32 s26, 0xbeb8f4ab
	v_pk_add_f32 v[64:65], v[48:49], v[64:65]
	v_pk_add_f32 v[154:155], v[52:53], v[26:27]
	;; [unrolled: 1-line block ×5, first 2 shown]
	v_pk_add_f32 v[152:153], v[36:37], v[18:19] neg_lo:[0,1] neg_hi:[0,1]
	v_pk_add_f32 v[62:63], v[42:43], v[62:63]
	s_mov_b32 s16, 0x3f6eb680
	v_pk_add_f32 v[62:63], v[44:45], v[62:63]
	s_mov_b32 s40, 0xbf2c7751
	v_pk_add_f32 v[62:63], v[28:29], v[62:63]
	v_pk_add_f32 v[142:143], v[16:17], v[38:39]
	;; [unrolled: 1-line block ×3, first 2 shown]
	v_pk_add_f32 v[148:149], v[38:39], v[16:17] neg_lo:[0,1] neg_hi:[0,1]
	v_pk_add_f32 v[62:63], v[20:21], v[62:63]
	v_pk_add_f32 v[134:135], v[22:23], v[46:47]
	;; [unrolled: 1-line block ×3, first 2 shown]
	v_pk_add_f32 v[140:141], v[46:47], v[22:23] neg_lo:[0,1] neg_hi:[0,1]
	v_pk_add_f32 v[62:63], v[16:17], v[62:63]
	v_pk_add_f32 v[126:127], v[20:21], v[48:49]
	;; [unrolled: 1-line block ×3, first 2 shown]
	v_pk_mul_f32 v[18:19], v[156:157], s[26:27] op_sel_hi:[1,0]
	v_pk_add_f32 v[132:133], v[48:49], v[20:21] neg_lo:[0,1] neg_hi:[0,1]
	v_pk_fma_f32 v[20:21], v[154:155], s[16:17], v[18:19] op_sel:[0,0,1] op_sel_hi:[1,0,0]
	v_pk_fma_f32 v[16:17], v[154:155], s[16:17], v[18:19] op_sel:[0,0,1] op_sel_hi:[1,0,0] neg_lo:[0,0,1] neg_hi:[0,0,1]
	s_mov_b32 s14, 0x3f3d2fb0
	v_pk_mul_f32 v[22:23], v[152:153], s[40:41] op_sel_hi:[1,0]
	v_pk_add_f32 v[110:111], v[28:29], v[34:35]
	v_pk_add_f32 v[116:117], v[34:35], v[28:29] neg_lo:[0,1] neg_hi:[0,1]
	v_accvgpr_write_b32 a3, v21
	v_mov_b32_e32 v21, v17
	v_accvgpr_write_b32 a4, v16
	v_pk_fma_f32 v[28:29], v[150:151], s[14:15], v[22:23] op_sel:[0,0,1] op_sel_hi:[1,0,0]
	v_pk_fma_f32 v[16:17], v[150:151], s[14:15], v[22:23] op_sel:[0,0,1] op_sel_hi:[1,0,0] neg_lo:[0,0,1] neg_hi:[0,0,1]
	v_pk_add_f32 v[26:27], v[24:25], v[20:21]
	v_accvgpr_write_b32 a5, v29
	v_mov_b32_e32 v29, v17
	s_mov_b32 s48, 0xbf65296c
	v_pk_add_f32 v[118:119], v[30:31], v[32:33]
	v_pk_add_f32 v[120:121], v[32:33], v[30:31] neg_lo:[0,1] neg_hi:[0,1]
	v_pk_add_f32 v[30:31], v[28:29], v[26:27]
	s_mov_b32 s10, 0x3ee437d1
	v_pk_mul_f32 v[28:29], v[148:149], s[48:49] op_sel_hi:[1,0]
	v_accvgpr_write_b32 a6, v16
	v_pk_fma_f32 v[32:33], v[142:143], s[10:11], v[28:29] op_sel:[0,0,1] op_sel_hi:[1,0,0]
	v_pk_fma_f32 v[16:17], v[142:143], s[10:11], v[28:29] op_sel:[0,0,1] op_sel_hi:[1,0,0] neg_lo:[0,0,1] neg_hi:[0,0,1]
	v_accvgpr_write_b32 a7, v33
	v_mov_b32_e32 v33, v17
	s_mov_b32 s38, 0xbf7ee86f
	v_pk_add_f32 v[34:35], v[32:33], v[30:31]
	s_mov_b32 s6, 0x3dbcf732
	v_pk_mul_f32 v[32:33], v[140:141], s[38:39] op_sel_hi:[1,0]
	v_accvgpr_write_b32 a8, v16
	v_pk_fma_f32 v[36:37], v[134:135], s[6:7], v[32:33] op_sel:[0,0,1] op_sel_hi:[1,0,0]
	v_pk_fma_f32 v[16:17], v[134:135], s[6:7], v[32:33] op_sel:[0,0,1] op_sel_hi:[1,0,0] neg_lo:[0,0,1] neg_hi:[0,0,1]
	v_accvgpr_write_b32 a9, v37
	v_mov_b32_e32 v37, v17
	s_mov_b32 s20, 0xbf763a35
	v_pk_add_f32 v[38:39], v[36:37], v[34:35]
	s_mov_b32 s18, 0xbe8c1d8e
	v_pk_mul_f32 v[36:37], v[132:133], s[20:21] op_sel_hi:[1,0]
	v_pk_add_f32 v[102:103], v[44:45], v[42:43]
	v_pk_add_f32 v[104:105], v[42:43], v[44:45] neg_lo:[0,1] neg_hi:[0,1]
	v_pk_fma_f32 v[42:43], v[126:127], s[18:19], v[36:37] op_sel:[0,0,1] op_sel_hi:[1,0,0]
	v_pk_fma_f32 v[250:251], v[126:127], s[18:19], v[36:37] op_sel:[0,0,1] op_sel_hi:[1,0,0] neg_lo:[0,0,1] neg_hi:[0,0,1]
	v_accvgpr_write_b32 a11, v43
	v_mov_b32_e32 v43, v251
	s_mov_b32 s24, 0xbf4c4adb
	v_pk_add_f32 v[44:45], v[42:43], v[38:39]
	s_mov_b32 s22, 0xbf1a4643
	v_pk_mul_f32 v[42:43], v[120:121], s[24:25] op_sel_hi:[1,0]
	s_mov_b32 s30, 0xbf06c442
	v_pk_fma_f32 v[46:47], v[118:119], s[22:23], v[42:43] op_sel:[0,0,1] op_sel_hi:[1,0,0]
	v_pk_fma_f32 v[234:235], v[118:119], s[22:23], v[42:43] op_sel:[0,0,1] op_sel_hi:[1,0,0] neg_lo:[0,0,1] neg_hi:[0,0,1]
	v_accvgpr_write_b32 a13, v47
	v_mov_b32_e32 v47, v235
	v_pk_add_f32 v[48:49], v[46:47], v[44:45]
	s_mov_b32 s28, 0xbf59a7d5
	v_pk_mul_f32 v[46:47], v[116:117], s[30:31] op_sel_hi:[1,0]
	v_pk_add_f32 v[62:63], v[52:53], v[62:63]
	v_pk_fma_f32 v[52:53], v[110:111], s[28:29], v[46:47] op_sel:[0,0,1] op_sel_hi:[1,0,0]
	v_pk_fma_f32 v[46:47], v[110:111], s[28:29], v[46:47] op_sel:[0,0,1] op_sel_hi:[1,0,0] neg_lo:[0,0,1] neg_hi:[0,0,1]
	v_accvgpr_write_b32 a15, v53
	v_mov_b32_e32 v53, v47
	s_mov_b32 s36, 0xbe3c28d5
	v_pk_add_f32 v[64:65], v[52:53], v[48:49]
	s_mov_b32 s34, 0xbf7ba420
	v_pk_mul_f32 v[52:53], v[104:105], s[36:37] op_sel_hi:[1,0]
	v_pk_mul_f32 v[68:69], v[152:153], s[38:39] op_sel_hi:[1,0]
	v_pk_fma_f32 v[66:67], v[102:103], s[34:35], v[52:53] op_sel:[0,0,1] op_sel_hi:[1,0,0]
	v_pk_fma_f32 v[52:53], v[102:103], s[34:35], v[52:53] op_sel:[0,0,1] op_sel_hi:[1,0,0] neg_lo:[0,0,1] neg_hi:[0,0,1]
	v_accvgpr_write_b32 a17, v67
	v_mov_b32_e32 v67, v53
	v_pk_add_f32 v[64:65], v[66:67], v[64:65]
	ds_write2_b64 v50, v[62:63], v[64:65] offset1:1
	v_pk_mul_f32 v[64:65], v[156:157], s[40:41] op_sel_hi:[1,0]
	v_pk_fma_f32 v[72:73], v[150:151], s[6:7], v[68:69] op_sel:[0,0,1] op_sel_hi:[1,0,0]
	v_pk_fma_f32 v[66:67], v[154:155], s[14:15], v[64:65] op_sel:[0,0,1] op_sel_hi:[1,0,0]
	v_pk_fma_f32 v[64:65], v[154:155], s[14:15], v[64:65] op_sel:[0,0,1] op_sel_hi:[1,0,0] neg_lo:[0,0,1] neg_hi:[0,0,1]
	v_mov_b32_e32 v47, v67
	v_mov_b32_e32 v67, v65
	v_pk_fma_f32 v[68:69], v[150:151], s[6:7], v[68:69] op_sel:[0,0,1] op_sel_hi:[1,0,0] neg_lo:[0,0,1] neg_hi:[0,0,1]
	v_pk_add_f32 v[70:71], v[24:25], v[66:67]
	v_mov_b32_e32 v53, v73
	v_mov_b32_e32 v73, v69
	v_pk_add_f32 v[74:75], v[72:73], v[70:71]
	v_pk_mul_f32 v[72:73], v[148:149], s[24:25] op_sel_hi:[1,0]
	s_mov_b32 s52, 0x3f06c442
	v_pk_fma_f32 v[76:77], v[142:143], s[22:23], v[72:73] op_sel:[0,0,1] op_sel_hi:[1,0,0]
	v_pk_fma_f32 v[72:73], v[142:143], s[22:23], v[72:73] op_sel:[0,0,1] op_sel_hi:[1,0,0] neg_lo:[0,0,1] neg_hi:[0,0,1]
	v_mov_b32_e32 v235, v77
	v_mov_b32_e32 v77, v73
	v_pk_add_f32 v[78:79], v[76:77], v[74:75]
	v_pk_mul_f32 v[76:77], v[140:141], s[36:37] op_sel_hi:[1,0]
	s_mov_b32 s50, 0x3f763a35
	v_pk_fma_f32 v[80:81], v[134:135], s[34:35], v[76:77] op_sel:[0,0,1] op_sel_hi:[1,0,0]
	v_pk_fma_f32 v[76:77], v[134:135], s[34:35], v[76:77] op_sel:[0,0,1] op_sel_hi:[1,0,0] neg_lo:[0,0,1] neg_hi:[0,0,1]
	;; [unrolled: 7-line block ×3, first 2 shown]
	v_accvgpr_write_b32 a19, v85
	v_mov_b32_e32 v85, v81
	v_pk_add_f32 v[86:87], v[84:85], v[82:83]
	v_pk_mul_f32 v[84:85], v[120:121], s[50:51] op_sel_hi:[1,0]
	s_mov_b32 s44, 0x3eb8f4ab
	v_pk_fma_f32 v[88:89], v[118:119], s[18:19], v[84:85] op_sel:[0,0,1] op_sel_hi:[1,0,0]
	v_pk_fma_f32 v[84:85], v[118:119], s[18:19], v[84:85] op_sel:[0,0,1] op_sel_hi:[1,0,0] neg_lo:[0,0,1] neg_hi:[0,0,1]
	v_accvgpr_write_b32 a21, v89
	v_mov_b32_e32 v89, v85
	v_pk_add_f32 v[90:91], v[88:89], v[86:87]
	v_pk_mul_f32 v[88:89], v[116:117], s[42:43] op_sel_hi:[1,0]
	v_pk_mul_f32 v[100:101], v[152:153], s[24:25] op_sel_hi:[1,0]
	v_pk_fma_f32 v[86:87], v[110:111], s[10:11], v[88:89] op_sel:[0,0,1] op_sel_hi:[1,0,0]
	v_pk_fma_f32 v[88:89], v[110:111], s[10:11], v[88:89] op_sel:[0,0,1] op_sel_hi:[1,0,0] neg_lo:[0,0,1] neg_hi:[0,0,1]
	v_mov_b32_e32 v92, v86
	v_mov_b32_e32 v93, v89
	v_pk_add_f32 v[94:95], v[92:93], v[90:91]
	v_pk_mul_f32 v[92:93], v[104:105], s[44:45] op_sel_hi:[1,0]
	s_mov_b32 s46, 0x3e3c28d5
	v_pk_fma_f32 v[90:91], v[102:103], s[16:17], v[92:93] op_sel:[0,0,1] op_sel_hi:[1,0,0]
	v_pk_fma_f32 v[92:93], v[102:103], s[16:17], v[92:93] op_sel:[0,0,1] op_sel_hi:[1,0,0] neg_lo:[0,0,1] neg_hi:[0,0,1]
	v_mov_b32_e32 v96, v90
	v_mov_b32_e32 v97, v93
	v_pk_add_f32 v[158:159], v[96:97], v[94:95]
	v_pk_mul_f32 v[96:97], v[156:157], s[48:49] op_sel_hi:[1,0]
	v_pk_mul_f32 v[164:165], v[152:153], s[36:37] op_sel_hi:[1,0]
	v_pk_fma_f32 v[94:95], v[154:155], s[10:11], v[96:97] op_sel:[0,0,1] op_sel_hi:[1,0,0]
	v_pk_fma_f32 v[96:97], v[154:155], s[10:11], v[96:97] op_sel:[0,0,1] op_sel_hi:[1,0,0] neg_lo:[0,0,1] neg_hi:[0,0,1]
	v_mov_b32_e32 v98, v94
	v_mov_b32_e32 v99, v97
	v_pk_add_f32 v[106:107], v[24:25], v[98:99]
	v_pk_fma_f32 v[98:99], v[150:151], s[22:23], v[100:101] op_sel:[0,0,1] op_sel_hi:[1,0,0]
	v_pk_fma_f32 v[100:101], v[150:151], s[22:23], v[100:101] op_sel:[0,0,1] op_sel_hi:[1,0,0] neg_lo:[0,0,1] neg_hi:[0,0,1]
	v_mov_b32_e32 v108, v98
	v_mov_b32_e32 v109, v101
	v_pk_add_f32 v[112:113], v[108:109], v[106:107]
	v_pk_mul_f32 v[108:109], v[148:149], s[46:47] op_sel_hi:[1,0]
	s_mov_b32 s46, 0x3f2c7751
	v_pk_fma_f32 v[106:107], v[142:143], s[34:35], v[108:109] op_sel:[0,0,1] op_sel_hi:[1,0,0]
	v_pk_fma_f32 v[108:109], v[142:143], s[34:35], v[108:109] op_sel:[0,0,1] op_sel_hi:[1,0,0] neg_lo:[0,0,1] neg_hi:[0,0,1]
	v_mov_b32_e32 v114, v106
	v_mov_b32_e32 v115, v109
	v_pk_add_f32 v[122:123], v[114:115], v[112:113]
	v_pk_mul_f32 v[114:115], v[140:141], s[50:51] op_sel_hi:[1,0]
	s_mov_b32 s54, 0x3f4c4adb
	v_pk_fma_f32 v[112:113], v[134:135], s[18:19], v[114:115] op_sel:[0,0,1] op_sel_hi:[1,0,0]
	v_pk_fma_f32 v[114:115], v[134:135], s[18:19], v[114:115] op_sel:[0,0,1] op_sel_hi:[1,0,0] neg_lo:[0,0,1] neg_hi:[0,0,1]
	v_mov_b32_e32 v124, v112
	v_mov_b32_e32 v125, v115
	v_pk_add_f32 v[128:129], v[124:125], v[122:123]
	v_pk_mul_f32 v[124:125], v[132:133], s[46:47] op_sel_hi:[1,0]
	v_pk_mul_f32 v[196:197], v[152:153], s[52:53] op_sel_hi:[1,0]
	v_pk_fma_f32 v[122:123], v[126:127], s[14:15], v[124:125] op_sel:[0,0,1] op_sel_hi:[1,0,0]
	v_pk_fma_f32 v[124:125], v[126:127], s[14:15], v[124:125] op_sel:[0,0,1] op_sel_hi:[1,0,0] neg_lo:[0,0,1] neg_hi:[0,0,1]
	v_mov_b32_e32 v130, v122
	v_mov_b32_e32 v131, v125
	v_pk_add_f32 v[136:137], v[130:131], v[128:129]
	v_pk_mul_f32 v[130:131], v[120:121], s[26:27] op_sel_hi:[1,0]
	v_pk_mul_f32 v[232:233], v[152:153], s[50:51] op_sel_hi:[1,0]
	v_pk_fma_f32 v[128:129], v[118:119], s[16:17], v[130:131] op_sel:[0,0,1] op_sel_hi:[1,0,0]
	v_pk_fma_f32 v[130:131], v[118:119], s[16:17], v[130:131] op_sel:[0,0,1] op_sel_hi:[1,0,0] neg_lo:[0,0,1] neg_hi:[0,0,1]
	v_mov_b32_e32 v138, v128
	v_mov_b32_e32 v139, v131
	v_pk_add_f32 v[144:145], v[138:139], v[136:137]
	v_pk_mul_f32 v[138:139], v[116:117], s[38:39] op_sel_hi:[1,0]
	v_pk_fma_f32 v[82:83], v[150:151], s[18:19], v[232:233] op_sel:[0,0,1] op_sel_hi:[1,0,0]
	v_pk_fma_f32 v[136:137], v[110:111], s[6:7], v[138:139] op_sel:[0,0,1] op_sel_hi:[1,0,0]
	v_pk_fma_f32 v[138:139], v[110:111], s[6:7], v[138:139] op_sel:[0,0,1] op_sel_hi:[1,0,0] neg_lo:[0,0,1] neg_hi:[0,0,1]
	v_mov_b32_e32 v146, v136
	v_mov_b32_e32 v147, v139
	v_pk_add_f32 v[160:161], v[146:147], v[144:145]
	v_pk_mul_f32 v[146:147], v[104:105], s[30:31] op_sel_hi:[1,0]
	v_pk_fma_f32 v[232:233], v[150:151], s[18:19], v[232:233] op_sel:[0,0,1] op_sel_hi:[1,0,0] neg_lo:[0,0,1] neg_hi:[0,0,1]
	v_pk_fma_f32 v[144:145], v[102:103], s[28:29], v[146:147] op_sel:[0,0,1] op_sel_hi:[1,0,0]
	v_pk_fma_f32 v[146:147], v[102:103], s[28:29], v[146:147] op_sel:[0,0,1] op_sel_hi:[1,0,0] neg_lo:[0,0,1] neg_hi:[0,0,1]
	v_mov_b32_e32 v162, v144
	v_mov_b32_e32 v163, v147
	v_pk_add_f32 v[160:161], v[162:163], v[160:161]
	ds_write2_b64 v50, v[158:159], v[160:161] offset0:2 offset1:3
	v_pk_mul_f32 v[160:161], v[156:157], s[38:39] op_sel_hi:[1,0]
	v_mov_b32_e32 v236, v82
	v_pk_fma_f32 v[158:159], v[154:155], s[6:7], v[160:161] op_sel:[0,0,1] op_sel_hi:[1,0,0]
	v_pk_fma_f32 v[160:161], v[154:155], s[6:7], v[160:161] op_sel:[0,0,1] op_sel_hi:[1,0,0] neg_lo:[0,0,1] neg_hi:[0,0,1]
	v_mov_b32_e32 v162, v158
	v_mov_b32_e32 v163, v161
	v_pk_add_f32 v[166:167], v[24:25], v[162:163]
	v_pk_fma_f32 v[162:163], v[150:151], s[34:35], v[164:165] op_sel:[0,0,1] op_sel_hi:[1,0,0]
	v_pk_fma_f32 v[164:165], v[150:151], s[34:35], v[164:165] op_sel:[0,0,1] op_sel_hi:[1,0,0] neg_lo:[0,0,1] neg_hi:[0,0,1]
	v_mov_b32_e32 v168, v162
	v_mov_b32_e32 v169, v165
	v_pk_add_f32 v[170:171], v[168:169], v[166:167]
	v_pk_mul_f32 v[168:169], v[148:149], s[50:51] op_sel_hi:[1,0]
	v_mov_b32_e32 v237, v233
	v_pk_fma_f32 v[166:167], v[142:143], s[18:19], v[168:169] op_sel:[0,0,1] op_sel_hi:[1,0,0]
	v_pk_fma_f32 v[168:169], v[142:143], s[18:19], v[168:169] op_sel:[0,0,1] op_sel_hi:[1,0,0] neg_lo:[0,0,1] neg_hi:[0,0,1]
	v_mov_b32_e32 v172, v166
	v_mov_b32_e32 v173, v169
	v_pk_add_f32 v[174:175], v[172:173], v[170:171]
	v_pk_mul_f32 v[172:173], v[140:141], s[44:45] op_sel_hi:[1,0]
	v_pk_mul_f32 v[246:247], v[152:153], s[42:43] op_sel_hi:[1,0]
	v_pk_fma_f32 v[170:171], v[134:135], s[16:17], v[172:173] op_sel:[0,0,1] op_sel_hi:[1,0,0]
	v_pk_fma_f32 v[172:173], v[134:135], s[16:17], v[172:173] op_sel:[0,0,1] op_sel_hi:[1,0,0] neg_lo:[0,0,1] neg_hi:[0,0,1]
	v_mov_b32_e32 v176, v170
	v_mov_b32_e32 v177, v173
	v_pk_add_f32 v[178:179], v[176:177], v[174:175]
	v_pk_mul_f32 v[176:177], v[132:133], s[48:49] op_sel_hi:[1,0]
	v_pk_fma_f32 v[44:45], v[150:151], s[10:11], v[246:247] op_sel:[0,0,1] op_sel_hi:[1,0,0]
	v_pk_fma_f32 v[174:175], v[126:127], s[10:11], v[176:177] op_sel:[0,0,1] op_sel_hi:[1,0,0]
	v_pk_fma_f32 v[176:177], v[126:127], s[10:11], v[176:177] op_sel:[0,0,1] op_sel_hi:[1,0,0] neg_lo:[0,0,1] neg_hi:[0,0,1]
	v_mov_b32_e32 v180, v174
	v_mov_b32_e32 v181, v177
	v_pk_add_f32 v[182:183], v[180:181], v[178:179]
	v_pk_mul_f32 v[180:181], v[120:121], s[30:31] op_sel_hi:[1,0]
	v_pk_fma_f32 v[246:247], v[150:151], s[10:11], v[246:247] op_sel:[0,0,1] op_sel_hi:[1,0,0] neg_lo:[0,0,1] neg_hi:[0,0,1]
	v_pk_fma_f32 v[178:179], v[118:119], s[28:29], v[180:181] op_sel:[0,0,1] op_sel_hi:[1,0,0]
	v_pk_fma_f32 v[180:181], v[118:119], s[28:29], v[180:181] op_sel:[0,0,1] op_sel_hi:[1,0,0] neg_lo:[0,0,1] neg_hi:[0,0,1]
	v_mov_b32_e32 v184, v178
	v_mov_b32_e32 v185, v181
	v_pk_add_f32 v[186:187], v[184:185], v[182:183]
	v_pk_mul_f32 v[184:185], v[116:117], s[54:55] op_sel_hi:[1,0]
	v_accvgpr_write_b32 a10, v16
	v_pk_fma_f32 v[182:183], v[110:111], s[22:23], v[184:185] op_sel:[0,0,1] op_sel_hi:[1,0,0]
	v_pk_fma_f32 v[184:185], v[110:111], s[22:23], v[184:185] op_sel:[0,0,1] op_sel_hi:[1,0,0] neg_lo:[0,0,1] neg_hi:[0,0,1]
	v_mov_b32_e32 v188, v182
	v_mov_b32_e32 v189, v185
	v_pk_add_f32 v[190:191], v[188:189], v[186:187]
	v_pk_mul_f32 v[188:189], v[104:105], s[46:47] op_sel_hi:[1,0]
	v_mov_b32_e32 v16, v44
	v_pk_fma_f32 v[186:187], v[102:103], s[14:15], v[188:189] op_sel:[0,0,1] op_sel_hi:[1,0,0]
	v_pk_fma_f32 v[188:189], v[102:103], s[14:15], v[188:189] op_sel:[0,0,1] op_sel_hi:[1,0,0] neg_lo:[0,0,1] neg_hi:[0,0,1]
	v_mov_b32_e32 v192, v186
	v_mov_b32_e32 v193, v189
	v_pk_add_f32 v[226:227], v[192:193], v[190:191]
	v_pk_mul_f32 v[192:193], v[156:157], s[20:21] op_sel_hi:[1,0]
	v_mov_b32_e32 v17, v247
	v_pk_fma_f32 v[190:191], v[154:155], s[18:19], v[192:193] op_sel:[0,0,1] op_sel_hi:[1,0,0]
	v_pk_fma_f32 v[192:193], v[154:155], s[18:19], v[192:193] op_sel:[0,0,1] op_sel_hi:[1,0,0] neg_lo:[0,0,1] neg_hi:[0,0,1]
	v_mov_b32_e32 v194, v190
	v_mov_b32_e32 v195, v193
	v_pk_add_f32 v[198:199], v[24:25], v[194:195]
	v_pk_fma_f32 v[194:195], v[150:151], s[28:29], v[196:197] op_sel:[0,0,1] op_sel_hi:[1,0,0]
	v_pk_fma_f32 v[196:197], v[150:151], s[28:29], v[196:197] op_sel:[0,0,1] op_sel_hi:[1,0,0] neg_lo:[0,0,1] neg_hi:[0,0,1]
	v_mov_b32_e32 v200, v194
	v_mov_b32_e32 v201, v197
	v_pk_add_f32 v[202:203], v[200:201], v[198:199]
	v_pk_mul_f32 v[200:201], v[148:149], s[46:47] op_sel_hi:[1,0]
	v_mov_b32_e32 v65, v50
	v_pk_fma_f32 v[198:199], v[142:143], s[14:15], v[200:201] op_sel:[0,0,1] op_sel_hi:[1,0,0]
	v_pk_fma_f32 v[200:201], v[142:143], s[14:15], v[200:201] op_sel:[0,0,1] op_sel_hi:[1,0,0] neg_lo:[0,0,1] neg_hi:[0,0,1]
	v_mov_b32_e32 v204, v198
	v_mov_b32_e32 v205, v201
	v_pk_add_f32 v[206:207], v[204:205], v[202:203]
	v_pk_mul_f32 v[204:205], v[140:141], s[48:49] op_sel_hi:[1,0]
	s_mov_b32 s48, 0x3f7ee86f
	v_pk_fma_f32 v[202:203], v[134:135], s[10:11], v[204:205] op_sel:[0,0,1] op_sel_hi:[1,0,0]
	v_pk_fma_f32 v[204:205], v[134:135], s[10:11], v[204:205] op_sel:[0,0,1] op_sel_hi:[1,0,0] neg_lo:[0,0,1] neg_hi:[0,0,1]
	v_mov_b32_e32 v208, v202
	v_mov_b32_e32 v209, v205
	v_pk_add_f32 v[210:211], v[208:209], v[206:207]
	v_pk_mul_f32 v[208:209], v[132:133], s[36:37] op_sel_hi:[1,0]
	v_pk_mul_f32 v[152:153], v[152:153], s[44:45] op_sel_hi:[1,0]
	v_pk_fma_f32 v[206:207], v[126:127], s[34:35], v[208:209] op_sel:[0,0,1] op_sel_hi:[1,0,0]
	v_pk_fma_f32 v[208:209], v[126:127], s[34:35], v[208:209] op_sel:[0,0,1] op_sel_hi:[1,0,0] neg_lo:[0,0,1] neg_hi:[0,0,1]
	v_mov_b32_e32 v212, v206
	v_mov_b32_e32 v213, v209
	v_pk_add_f32 v[214:215], v[212:213], v[210:211]
	v_pk_mul_f32 v[212:213], v[120:121], s[48:49] op_sel_hi:[1,0]
	v_mov_b32_e32 v247, v45
	v_pk_fma_f32 v[210:211], v[118:119], s[6:7], v[212:213] op_sel:[0,0,1] op_sel_hi:[1,0,0]
	v_pk_fma_f32 v[212:213], v[118:119], s[6:7], v[212:213] op_sel:[0,0,1] op_sel_hi:[1,0,0] neg_lo:[0,0,1] neg_hi:[0,0,1]
	v_mov_b32_e32 v216, v210
	v_mov_b32_e32 v217, v213
	v_pk_add_f32 v[218:219], v[216:217], v[214:215]
	v_pk_mul_f32 v[216:217], v[116:117], s[26:27] op_sel_hi:[1,0]
	v_mov_b32_e32 v233, v83
	;; [unrolled: 7-line block ×3, first 2 shown]
	v_pk_fma_f32 v[218:219], v[102:103], s[22:23], v[220:221] op_sel:[0,0,1] op_sel_hi:[1,0,0]
	v_pk_fma_f32 v[220:221], v[102:103], s[22:23], v[220:221] op_sel:[0,0,1] op_sel_hi:[1,0,0] neg_lo:[0,0,1] neg_hi:[0,0,1]
	v_mov_b32_e32 v230, v218
	v_mov_b32_e32 v231, v221
	v_pk_add_f32 v[228:229], v[230:231], v[228:229]
	ds_write2_b64 v50, v[226:227], v[228:229] offset0:4 offset1:5
	v_pk_mul_f32 v[226:227], v[156:157], s[24:25] op_sel_hi:[1,0]
	v_mov_b32_e32 v161, v159
	v_pk_fma_f32 v[228:229], v[154:155], s[22:23], v[226:227] op_sel:[0,0,1] op_sel_hi:[1,0,0]
	v_pk_fma_f32 v[226:227], v[154:155], s[22:23], v[226:227] op_sel:[0,0,1] op_sel_hi:[1,0,0] neg_lo:[0,0,1] neg_hi:[0,0,1]
	v_mov_b32_e32 v230, v228
	v_mov_b32_e32 v231, v227
	v_pk_add_f32 v[230:231], v[24:25], v[230:231]
	v_mov_b32_e32 v227, v229
	v_pk_add_f32 v[230:231], v[236:237], v[230:231]
	v_pk_mul_f32 v[236:237], v[148:149], s[26:27] op_sel_hi:[1,0]
	v_mov_b32_e32 v197, v195
	v_pk_fma_f32 v[78:79], v[142:143], s[16:17], v[236:237] op_sel:[0,0,1] op_sel_hi:[1,0,0]
	v_pk_fma_f32 v[236:237], v[142:143], s[16:17], v[236:237] op_sel:[0,0,1] op_sel_hi:[1,0,0] neg_lo:[0,0,1] neg_hi:[0,0,1]
	v_mov_b32_e32 v240, v78
	v_mov_b32_e32 v241, v237
	v_pk_add_f32 v[230:231], v[240:241], v[230:231]
	v_pk_mul_f32 v[240:241], v[140:141], s[30:31] op_sel_hi:[1,0]
	v_mov_b32_e32 v237, v79
	v_pk_fma_f32 v[74:75], v[134:135], s[28:29], v[240:241] op_sel:[0,0,1] op_sel_hi:[1,0,0]
	v_pk_fma_f32 v[240:241], v[134:135], s[28:29], v[240:241] op_sel:[0,0,1] op_sel_hi:[1,0,0] neg_lo:[0,0,1] neg_hi:[0,0,1]
	v_mov_b32_e32 v244, v74
	v_mov_b32_e32 v245, v241
	v_pk_add_f32 v[230:231], v[244:245], v[230:231]
	v_pk_mul_f32 v[244:245], v[132:133], s[48:49] op_sel_hi:[1,0]
	v_mov_b32_e32 v241, v75
	v_pk_fma_f32 v[70:71], v[126:127], s[6:7], v[244:245] op_sel:[0,0,1] op_sel_hi:[1,0,0]
	v_pk_fma_f32 v[244:245], v[126:127], s[6:7], v[244:245] op_sel:[0,0,1] op_sel_hi:[1,0,0] neg_lo:[0,0,1] neg_hi:[0,0,1]
	v_mov_b32_e32 v248, v70
	v_mov_b32_e32 v249, v245
	v_pk_add_f32 v[230:231], v[248:249], v[230:231]
	v_pk_mul_f32 v[248:249], v[120:121], s[40:41] op_sel_hi:[1,0]
	v_mov_b32_e32 v245, v71
	v_pk_fma_f32 v[66:67], v[118:119], s[14:15], v[248:249] op_sel:[0,0,1] op_sel_hi:[1,0,0]
	v_pk_fma_f32 v[248:249], v[118:119], s[14:15], v[248:249] op_sel:[0,0,1] op_sel_hi:[1,0,0] neg_lo:[0,0,1] neg_hi:[0,0,1]
	v_mov_b32_e32 v252, v66
	v_mov_b32_e32 v253, v249
	v_pk_add_f32 v[230:231], v[252:253], v[230:231]
	v_pk_mul_f32 v[252:253], v[116:117], s[36:37] op_sel_hi:[1,0]
	v_mov_b32_e32 v249, v67
	v_pk_fma_f32 v[62:63], v[110:111], s[34:35], v[252:253] op_sel:[0,0,1] op_sel_hi:[1,0,0]
	v_pk_fma_f32 v[252:253], v[110:111], s[34:35], v[252:253] op_sel:[0,0,1] op_sel_hi:[1,0,0] neg_lo:[0,0,1] neg_hi:[0,0,1]
	v_mov_b32_e32 v254, v62
	v_mov_b32_e32 v255, v253
	v_pk_add_f32 v[230:231], v[254:255], v[230:231]
	v_pk_mul_f32 v[254:255], v[104:105], s[42:43] op_sel_hi:[1,0]
	v_mov_b32_e32 v253, v63
	v_pk_fma_f32 v[48:49], v[102:103], s[10:11], v[254:255] op_sel:[0,0,1] op_sel_hi:[1,0,0]
	v_pk_fma_f32 v[254:255], v[102:103], s[10:11], v[254:255] op_sel:[0,0,1] op_sel_hi:[1,0,0] neg_lo:[0,0,1] neg_hi:[0,0,1]
	v_mov_b32_e32 v224, v48
	v_mov_b32_e32 v225, v255
	v_pk_add_f32 v[224:225], v[224:225], v[230:231]
	v_pk_mul_f32 v[230:231], v[156:157], s[30:31] op_sel_hi:[1,0]
	v_mov_b32_e32 v255, v49
	v_pk_fma_f32 v[242:243], v[154:155], s[28:29], v[230:231] op_sel:[0,0,1] op_sel_hi:[1,0,0]
	v_pk_fma_f32 v[230:231], v[154:155], s[28:29], v[230:231] op_sel:[0,0,1] op_sel_hi:[1,0,0] neg_lo:[0,0,1] neg_hi:[0,0,1]
	v_mov_b32_e32 v238, v242
	v_mov_b32_e32 v239, v231
	v_pk_add_f32 v[238:239], v[24:25], v[238:239]
	v_mov_b32_e32 v231, v243
	v_pk_add_f32 v[16:17], v[16:17], v[238:239]
	v_pk_mul_f32 v[238:239], v[148:149], s[38:39] op_sel_hi:[1,0]
	v_pk_mul_f32 v[148:149], v[148:149], s[30:31] op_sel_hi:[1,0]
	v_pk_fma_f32 v[42:43], v[142:143], s[6:7], v[238:239] op_sel:[0,0,1] op_sel_hi:[1,0,0]
	v_pk_fma_f32 v[238:239], v[142:143], s[6:7], v[238:239] op_sel:[0,0,1] op_sel_hi:[1,0,0] neg_lo:[0,0,1] neg_hi:[0,0,1]
	v_mov_b32_e32 v50, v42
	v_mov_b32_e32 v42, v51
	;; [unrolled: 1-line block ×3, first 2 shown]
	v_pk_add_f32 v[16:17], v[50:51], v[16:17]
	v_pk_mul_f32 v[50:51], v[140:141], s[54:55] op_sel_hi:[1,0]
	v_pk_mul_f32 v[140:141], v[140:141], s[46:47] op_sel_hi:[1,0]
	v_pk_fma_f32 v[38:39], v[134:135], s[22:23], v[50:51] op_sel:[0,0,1] op_sel_hi:[1,0,0]
	v_pk_fma_f32 v[50:51], v[134:135], s[22:23], v[50:51] op_sel:[0,0,1] op_sel_hi:[1,0,0] neg_lo:[0,0,1] neg_hi:[0,0,1]
	v_mov_b32_e32 v18, v38
	v_mov_b32_e32 v19, v51
	v_pk_add_f32 v[16:17], v[18:19], v[16:17]
	v_pk_mul_f32 v[18:19], v[132:133], s[26:27] op_sel_hi:[1,0]
	v_pk_mul_f32 v[132:133], v[132:133], s[24:25] op_sel_hi:[1,0]
	v_pk_fma_f32 v[36:37], v[126:127], s[16:17], v[18:19] op_sel:[0,0,1] op_sel_hi:[1,0,0]
	v_pk_fma_f32 v[18:19], v[126:127], s[16:17], v[18:19] op_sel:[0,0,1] op_sel_hi:[1,0,0] neg_lo:[0,0,1] neg_hi:[0,0,1]
	v_mov_b32_e32 v20, v36
	v_mov_b32_e32 v21, v19
	;; [unrolled: 7-line block ×5, first 2 shown]
	v_pk_add_f32 v[16:17], v[28:29], v[16:17]
	ds_write2_b64 v65, v[224:225], v[16:17] offset0:6 offset1:7
	v_pk_mul_f32 v[16:17], v[156:157], s[36:37] op_sel_hi:[1,0]
	v_mov_b32_e32 v239, v43
	v_pk_fma_f32 v[28:29], v[154:155], s[34:35], v[16:17] op_sel:[0,0,1] op_sel_hi:[1,0,0]
	v_pk_fma_f32 v[16:17], v[154:155], s[34:35], v[16:17] op_sel:[0,0,1] op_sel_hi:[1,0,0] neg_lo:[0,0,1] neg_hi:[0,0,1]
	v_pk_fma_f32 v[154:155], v[150:151], s[16:17], v[152:153] op_sel:[0,0,1] op_sel_hi:[1,0,0]
	v_pk_fma_f32 v[150:151], v[150:151], s[16:17], v[152:153] op_sel:[0,0,1] op_sel_hi:[1,0,0] neg_lo:[0,0,1] neg_hi:[0,0,1]
	v_mov_b32_e32 v152, v28
	v_mov_b32_e32 v153, v17
	v_pk_add_f32 v[152:153], v[24:25], v[152:153]
	v_mov_b32_e32 v156, v154
	v_mov_b32_e32 v157, v151
	v_pk_add_f32 v[152:153], v[156:157], v[152:153]
	v_pk_fma_f32 v[156:157], v[142:143], s[28:29], v[148:149] op_sel:[0,0,1] op_sel_hi:[1,0,0]
	v_pk_fma_f32 v[142:143], v[142:143], s[28:29], v[148:149] op_sel:[0,0,1] op_sel_hi:[1,0,0] neg_lo:[0,0,1] neg_hi:[0,0,1]
	v_mov_b32_e32 v148, v156
	v_mov_b32_e32 v149, v143
	v_pk_add_f32 v[148:149], v[148:149], v[152:153]
	v_pk_fma_f32 v[152:153], v[134:135], s[14:15], v[140:141] op_sel:[0,0,1] op_sel_hi:[1,0,0]
	v_pk_fma_f32 v[134:135], v[134:135], s[14:15], v[140:141] op_sel:[0,0,1] op_sel_hi:[1,0,0] neg_lo:[0,0,1] neg_hi:[0,0,1]
	;; [unrolled: 5-line block ×3, first 2 shown]
	v_mov_b32_e32 v17, v29
	v_mov_b32_e32 v132, v148
	;; [unrolled: 1-line block ×4, first 2 shown]
	v_pk_add_f32 v[16:17], v[24:25], v[16:17]
	v_pk_add_f32 v[132:133], v[132:133], v[140:141]
	v_pk_fma_f32 v[140:141], v[118:119], s[10:11], v[120:121] op_sel:[0,0,1] op_sel_hi:[1,0,0]
	v_pk_fma_f32 v[118:119], v[118:119], s[10:11], v[120:121] op_sel:[0,0,1] op_sel_hi:[1,0,0] neg_lo:[0,0,1] neg_hi:[0,0,1]
	v_pk_add_f32 v[16:17], v[150:151], v[16:17]
	v_mov_b32_e32 v143, v157
	v_mov_b32_e32 v120, v140
	v_mov_b32_e32 v121, v119
	v_pk_add_f32 v[16:17], v[142:143], v[16:17]
	v_mov_b32_e32 v135, v153
	v_pk_add_f32 v[120:121], v[120:121], v[132:133]
	v_pk_fma_f32 v[132:133], v[110:111], s[18:19], v[116:117] op_sel:[0,0,1] op_sel_hi:[1,0,0]
	v_pk_fma_f32 v[110:111], v[110:111], s[18:19], v[116:117] op_sel:[0,0,1] op_sel_hi:[1,0,0] neg_lo:[0,0,1] neg_hi:[0,0,1]
	v_pk_add_f32 v[16:17], v[134:135], v[16:17]
	v_mov_b32_e32 v127, v149
	v_mov_b32_e32 v116, v132
	v_mov_b32_e32 v117, v111
	v_pk_add_f32 v[16:17], v[126:127], v[16:17]
	v_mov_b32_e32 v119, v141
	;; [unrolled: 9-line block ×3, first 2 shown]
	v_pk_add_f32 v[104:105], v[104:105], v[116:117]
	v_pk_add_f32 v[16:17], v[102:103], v[16:17]
	ds_write2_b64 v65, v[104:105], v[16:17] offset0:8 offset1:9
	v_pk_add_f32 v[16:17], v[24:25], v[230:231]
	v_mov_b32_e32 v51, v39
	v_pk_add_f32 v[16:17], v[246:247], v[16:17]
	v_mov_b32_e32 v19, v37
	;; [unrolled: 2-line block ×4, first 2 shown]
	v_pk_add_f32 v[16:17], v[18:19], v[16:17]
	v_pk_add_f32 v[18:19], v[24:25], v[226:227]
	;; [unrolled: 1-line block ×6, first 2 shown]
	v_mov_b32_e32 v27, v31
	v_pk_add_f32 v[18:19], v[240:241], v[18:19]
	v_pk_add_f32 v[16:17], v[26:27], v[16:17]
	;; [unrolled: 1-line block ×3, first 2 shown]
	v_mov_b32_e32 v165, v163
	v_pk_add_f32 v[18:19], v[248:249], v[18:19]
	v_mov_b32_e32 v201, v199
	v_pk_add_f32 v[18:19], v[252:253], v[18:19]
	;; [unrolled: 2-line block ×3, first 2 shown]
	ds_write2_b64 v65, v[16:17], v[18:19] offset0:10 offset1:11
	v_pk_add_f32 v[16:17], v[24:25], v[192:193]
	v_pk_add_f32 v[18:19], v[24:25], v[160:161]
	;; [unrolled: 1-line block ×5, first 2 shown]
	v_mov_b32_e32 v205, v203
	v_pk_add_f32 v[18:19], v[168:169], v[18:19]
	v_mov_b32_e32 v173, v171
	v_pk_add_f32 v[16:17], v[204:205], v[16:17]
	;; [unrolled: 2-line block ×10, first 2 shown]
	v_pk_add_f32 v[18:19], v[188:189], v[18:19]
	v_mov_b32_e32 v28, v65
	ds_write2_b64 v65, v[16:17], v[18:19] offset0:12 offset1:13
	v_mov_b32_e32 v97, v95
	v_mov_b32_e32 v65, v47
	v_pk_add_f32 v[16:17], v[24:25], v[96:97]
	v_mov_b32_e32 v101, v99
	v_pk_add_f32 v[18:19], v[24:25], v[64:65]
	;; [unrolled: 2-line block ×8, first 2 shown]
	v_accvgpr_read_b32 v81, a19
	v_pk_add_f32 v[16:17], v[124:125], v[16:17]
	v_mov_b32_e32 v131, v129
	v_pk_add_f32 v[18:19], v[80:81], v[18:19]
	v_accvgpr_read_b32 v85, a21
	v_pk_add_f32 v[16:17], v[130:131], v[16:17]
	v_mov_b32_e32 v139, v137
	v_pk_add_f32 v[18:19], v[84:85], v[18:19]
	v_mov_b32_e32 v89, v87
	;; [unrolled: 2-line block ×4, first 2 shown]
	v_pk_add_f32 v[16:17], v[146:147], v[16:17]
	v_pk_add_f32 v[18:19], v[92:93], v[18:19]
	ds_write2_b64 v28, v[16:17], v[18:19] offset0:14 offset1:15
	v_accvgpr_read_b32 v16, a4
	v_accvgpr_read_b32 v17, a3
	v_pk_add_f32 v[16:17], v[24:25], v[16:17]
	v_accvgpr_read_b32 v18, a6
	v_accvgpr_read_b32 v19, a5
	v_pk_add_f32 v[16:17], v[18:19], v[16:17]
	;; [unrolled: 3-line block ×4, first 2 shown]
	v_accvgpr_read_b32 v251, a11
	v_pk_add_f32 v[16:17], v[250:251], v[16:17]
	v_accvgpr_read_b32 v235, a13
	v_pk_add_f32 v[16:17], v[234:235], v[16:17]
	;; [unrolled: 2-line block ×3, first 2 shown]
	v_accvgpr_read_b32 v53, a17
	v_accvgpr_read_b32 v50, a1
	v_mov_b32_e32 v51, v42
	v_pk_add_f32 v[16:17], v[52:53], v[16:17]
	ds_write_b64 v28, v[16:17] offset:128
.LBB0_13:
	s_or_b64 exec, exec, s[4:5]
	s_waitcnt lgkmcnt(0)
	s_barrier
	ds_read2_b64 v[16:19], v222 offset1:17
	ds_read2_b64 v[20:23], v222 offset0:34 offset1:51
	ds_read2_b64 v[24:27], v222 offset0:68 offset1:85
	;; [unrolled: 1-line block ×3, first 2 shown]
	ds_read_b64 v[32:33], v222 offset:1088
	s_waitcnt lgkmcnt(4)
	v_pk_mul_f32 v[12:13], v[12:13], v[18:19]
	s_waitcnt lgkmcnt(3)
	v_pk_mul_f32 v[14:15], v[14:15], v[20:21]
	v_pk_fma_f32 v[34:35], v[58:59], v[18:19], v[12:13] op_sel:[0,0,1] op_sel_hi:[1,1,0]
	v_pk_fma_f32 v[12:13], v[58:59], v[18:19], v[12:13] op_sel:[0,0,1] op_sel_hi:[1,1,0] neg_lo:[0,0,1] neg_hi:[0,0,1]
	v_pk_fma_f32 v[18:19], v[56:57], v[20:21], v[14:15] op_sel:[0,0,1] op_sel_hi:[1,1,0]
	v_pk_fma_f32 v[14:15], v[56:57], v[20:21], v[14:15] op_sel:[0,0,1] op_sel_hi:[1,1,0] neg_lo:[0,0,1] neg_hi:[0,0,1]
	v_pk_mul_f32 v[20:21], v[8:9], v[22:23] op_sel:[1,0]
	s_waitcnt lgkmcnt(1)
	v_pk_mul_f32 v[0:1], v[0:1], v[30:31]
	v_pk_fma_f32 v[36:37], v[8:9], v[22:23], v[20:21] op_sel:[0,0,1] op_sel_hi:[1,1,0]
	v_pk_fma_f32 v[8:9], v[8:9], v[22:23], v[20:21] op_sel:[0,0,1] op_sel_hi:[0,1,0] neg_lo:[0,0,1] neg_hi:[0,0,1]
	v_mov_b32_e32 v37, v9
	v_pk_mul_f32 v[8:9], v[10:11], v[24:25]
	s_waitcnt lgkmcnt(0)
	v_pk_mul_f32 v[2:3], v[2:3], v[32:33]
	v_pk_fma_f32 v[10:11], v[60:61], v[24:25], v[8:9] op_sel:[0,0,1] op_sel_hi:[1,1,0]
	v_pk_fma_f32 v[8:9], v[60:61], v[24:25], v[8:9] op_sel:[0,0,1] op_sel_hi:[1,1,0] neg_lo:[0,0,1] neg_hi:[0,0,1]
	v_mov_b32_e32 v19, v15
	v_mov_b32_e32 v11, v9
	v_pk_mul_f32 v[8:9], v[4:5], v[26:27] op_sel:[1,0]
	s_mov_b32 s6, 0x3f248dbb
	v_pk_fma_f32 v[20:21], v[4:5], v[26:27], v[8:9] op_sel:[0,0,1] op_sel_hi:[1,1,0]
	v_pk_fma_f32 v[4:5], v[4:5], v[26:27], v[8:9] op_sel:[0,0,1] op_sel_hi:[0,1,0] neg_lo:[0,0,1] neg_hi:[0,0,1]
	v_mov_b32_e32 v21, v5
	v_pk_mul_f32 v[4:5], v[6:7], v[28:29] op_sel:[1,0]
	s_mov_b32 s7, 0x3f7c1c5c
	v_pk_fma_f32 v[8:9], v[6:7], v[28:29], v[4:5] op_sel:[0,0,1] op_sel_hi:[1,1,0]
	v_pk_fma_f32 v[4:5], v[6:7], v[28:29], v[4:5] op_sel:[0,0,1] op_sel_hi:[0,1,0] neg_lo:[0,0,1] neg_hi:[0,0,1]
	v_mov_b32_e32 v9, v5
	v_pk_fma_f32 v[4:5], v[54:55], v[30:31], v[0:1] op_sel:[0,0,1] op_sel_hi:[1,1,0]
	v_pk_fma_f32 v[0:1], v[54:55], v[30:31], v[0:1] op_sel:[0,0,1] op_sel_hi:[1,1,0] neg_lo:[0,0,1] neg_hi:[0,0,1]
	v_pk_fma_f32 v[6:7], v[40:41], v[32:33], v[2:3] op_sel:[0,0,1] op_sel_hi:[1,1,0]
	v_mov_b32_e32 v5, v1
	v_pk_fma_f32 v[2:3], v[40:41], v[32:33], v[2:3] op_sel:[0,0,1] op_sel_hi:[1,1,0] neg_lo:[0,0,1] neg_hi:[0,0,1]
	v_pk_add_f32 v[24:25], v[18:19], v[4:5]
	v_mov_b32_e32 v7, v3
	v_mov_b32_e32 v2, v3
	;; [unrolled: 1-line block ×10, first 2 shown]
	v_pk_add_f32 v[0:1], v[4:5], v[0:1] neg_lo:[0,1] neg_hi:[0,1]
	s_mov_b32 s10, s7
	s_mov_b32 s11, s6
	v_pk_add_f32 v[22:23], v[34:35], v[6:7]
	v_pk_add_f32 v[2:3], v[12:13], v[2:3] neg_lo:[0,1] neg_hi:[0,1]
	v_pk_add_f32 v[4:5], v[36:37], v[8:9] neg_lo:[0,1] neg_hi:[0,1]
	s_mov_b32 s4, 0x3f5db3d7
	v_pk_mul_f32 v[6:7], v[0:1], s[10:11]
	v_pk_add_f32 v[26:27], v[36:37], v[8:9]
	v_pk_mul_f32 v[4:5], v[4:5], s[4:5] op_sel_hi:[1,0]
	v_pk_fma_f32 v[6:7], v[2:3], s[6:7], v[6:7]
	v_pk_add_f32 v[8:9], v[10:11], v[20:21] neg_lo:[0,1] neg_hi:[0,1]
	s_mov_b32 s10, 0x3eaf1d44
	v_pk_add_f32 v[6:7], v[4:5], v[6:7] op_sel:[1,0] op_sel_hi:[0,1]
	v_pk_mul_f32 v[12:13], v[8:9], s[10:11] op_sel_hi:[1,0]
	s_mov_b32 s14, 0x3f441b7d
	v_pk_add_f32 v[28:29], v[24:25], v[22:23]
	v_pk_add_f32 v[6:7], v[12:13], v[6:7] op_sel:[1,0] op_sel_hi:[0,1]
	v_pk_fma_f32 v[12:13], v[22:23], s[14:15], v[16:17] op_sel_hi:[1,0,1]
	s_mov_b32 s16, 0x3e31d0d4
	v_pk_add_f32 v[30:31], v[26:27], v[28:29]
	v_pk_fma_f32 v[12:13], v[24:25], s[16:17], v[12:13] op_sel_hi:[1,0,1]
	v_pk_add_f32 v[30:31], v[10:11], v[30:31]
	v_pk_fma_f32 v[12:13], v[26:27], 0.5, v[12:13] op_sel_hi:[1,0,1] neg_lo:[1,0,0] neg_hi:[1,0,0]
	v_pk_add_f32 v[10:11], v[10:11], v[20:21]
	s_mov_b32 s18, 0x3f708fb2
	v_pk_fma_f32 v[12:13], v[10:11], s[18:19], v[12:13] op_sel_hi:[1,0,1] neg_lo:[1,0,0] neg_hi:[1,0,0]
	v_pk_add_f32 v[30:31], v[20:21], v[30:31]
	v_pk_add_f32 v[14:15], v[12:13], v[6:7] neg_lo:[0,1] neg_hi:[0,1]
	v_pk_add_f32 v[12:13], v[12:13], v[6:7]
	v_pk_add_f32 v[30:31], v[30:31], v[16:17]
	v_mov_b32_e32 v15, v13
	v_fma_f32 v12, 2.0, v6, v14
	v_fmac_f32_e32 v13, -2.0, v7
	ds_write2_b64 v223, v[30:31], v[14:15] offset1:17
	v_pk_mul_f32 v[6:7], v[8:9], s[6:7] op_sel_hi:[1,0]
	v_mov_b32_e32 v14, v2
	v_mov_b32_e32 v15, v1
	s_mov_b32 s6, s7
	v_pk_fma_f32 v[20:21], v[10:11], s[14:15], v[16:17] op_sel_hi:[1,0,1]
	v_pk_fma_f32 v[6:7], v[14:15], s[6:7], v[6:7] op_sel:[0,0,1] op_sel_hi:[1,0,0] neg_lo:[0,0,1] neg_hi:[0,0,1]
	v_pk_fma_f32 v[20:21], v[22:23], s[16:17], v[20:21] op_sel_hi:[1,0,1]
	v_pk_add_f32 v[6:7], v[6:7], v[4:5] op_sel:[0,1] op_sel_hi:[1,0] neg_lo:[0,1] neg_hi:[0,1]
	v_mov_b32_e32 v18, v0
	v_mov_b32_e32 v19, v3
	v_pk_fma_f32 v[20:21], v[26:27], 0.5, v[20:21] op_sel_hi:[1,0,1] neg_lo:[1,0,0] neg_hi:[1,0,0]
	v_pk_fma_f32 v[6:7], v[18:19], s[10:11], v[6:7] op_sel_hi:[1,0,1]
	v_pk_fma_f32 v[20:21], v[24:25], s[18:19], v[20:21] op_sel_hi:[1,0,1] neg_lo:[1,0,0] neg_hi:[1,0,0]
	v_mov_b32_e32 v32, v1
	v_mov_b32_e32 v33, v2
	v_pk_add_f32 v[30:31], v[20:21], v[6:7] neg_lo:[0,1] neg_hi:[0,1]
	v_pk_add_f32 v[20:21], v[20:21], v[6:7]
	v_pk_add_f32 v[32:33], v[8:9], v[32:33]
	v_mov_b32_e32 v2, v3
	v_mov_b32_e32 v3, v0
	v_fma_f32 v20, 2.0, v6, v30
	v_mov_b32_e32 v31, v21
	v_fmac_f32_e32 v21, -2.0, v7
	v_pk_add_f32 v[6:7], v[26:27], v[16:17]
	v_pk_add_f32 v[0:1], v[32:33], v[2:3] neg_lo:[0,1] neg_hi:[0,1]
	v_pk_add_f32 v[2:3], v[10:11], v[28:29]
	v_pk_mul_f32 v[0:1], v[0:1], s[4:5] op_sel_hi:[1,0]
	v_pk_fma_f32 v[2:3], v[2:3], 0.5, v[6:7] op_sel_hi:[1,0,1] neg_lo:[1,0,0] neg_hi:[1,0,0]
	s_mov_b32 s4, 0xbf248dbb
	v_pk_add_f32 v[6:7], v[2:3], v[0:1] op_sel:[0,1] op_sel_hi:[1,0] neg_lo:[0,1] neg_hi:[0,1]
	v_pk_add_f32 v[2:3], v[2:3], v[0:1] op_sel:[0,1] op_sel_hi:[1,0]
	s_nop 0
	v_mov_b32_e32 v7, v3
	v_fma_f32 v2, 2.0, v1, v6
	v_fmac_f32_e32 v3, -2.0, v0
	ds_write2_b64 v223, v[30:31], v[6:7] offset0:34 offset1:51
	v_pk_fma_f32 v[0:1], v[24:25], s[14:15], v[16:17] op_sel_hi:[1,0,1]
	v_pk_mul_f32 v[6:7], v[8:9], s[6:7] op_sel_hi:[1,0]
	v_pk_fma_f32 v[0:1], v[10:11], s[16:17], v[0:1] op_sel_hi:[1,0,1]
	v_pk_fma_f32 v[6:7], v[18:19], s[4:5], v[6:7] op_sel:[0,0,1] op_sel_hi:[1,0,0] neg_lo:[0,0,1] neg_hi:[0,0,1]
	v_pk_fma_f32 v[0:1], v[26:27], 0.5, v[0:1] op_sel_hi:[1,0,1] neg_lo:[1,0,0] neg_hi:[1,0,0]
	v_pk_add_f32 v[4:5], v[4:5], v[6:7] op_sel:[1,0] op_sel_hi:[0,1]
	v_pk_fma_f32 v[4:5], v[14:15], s[10:11], v[4:5] op_sel_hi:[1,0,1]
	v_pk_fma_f32 v[0:1], v[22:23], s[18:19], v[0:1] op_sel_hi:[1,0,1] neg_lo:[1,0,0] neg_hi:[1,0,0]
	s_and_b64 s[4:5], exec, vcc
	v_pk_add_f32 v[6:7], v[0:1], v[4:5] neg_lo:[0,1] neg_hi:[0,1]
	v_pk_add_f32 v[0:1], v[0:1], v[4:5]
	v_accvgpr_read_b32 v16, a2
	v_fma_f32 v0, 2.0, v4, v6
	v_mov_b32_e32 v7, v1
	v_fmac_f32_e32 v1, -2.0, v5
	ds_write2_b64 v223, v[6:7], v[0:1] offset0:68 offset1:85
	ds_write2_b64 v223, v[2:3], v[20:21] offset0:102 offset1:119
	ds_write_b64 v223, v[12:13] offset:1088
	s_waitcnt lgkmcnt(0)
	s_barrier
	s_mov_b64 exec, s[4:5]
	s_cbranch_execz .LBB0_15
; %bb.14:
	v_accvgpr_read_b32 v14, a0
	global_load_dwordx2 v[2:3], v14, s[8:9]
	ds_read_b64 v[6:7], v223
	v_mad_u64_u32 v[4:5], s[4:5], s2, v16, 0
	v_mov_b32_e32 v10, v5
	v_mad_u64_u32 v[10:11], s[2:3], s3, v16, v[10:11]
	v_mov_b32_e32 v0, s12
	v_mov_b32_e32 v1, s13
	;; [unrolled: 1-line block ×3, first 2 shown]
	v_mad_u64_u32 v[8:9], s[6:7], s0, v51, 0
	v_lshl_add_u64 v[0:1], v[4:5], 3, v[0:1]
	s_mov_b32 s4, 0x1ac5701b
	v_mov_b32_e32 v12, v9
	s_mov_b32 s5, 0x3f7ac570
	v_mad_u64_u32 v[12:13], s[2:3], s1, v51, v[12:13]
	v_mov_b32_e32 v9, v12
	v_lshl_add_u64 v[8:9], v[8:9], 3, v[0:1]
	v_lshl_add_u32 v10, v50, 3, v14
	v_mov_b32_e32 v11, 0x48
	s_mul_i32 s2, s1, 0x48
	s_waitcnt vmcnt(0) lgkmcnt(0)
	v_mul_f32_e32 v4, v7, v3
	v_mul_f32_e32 v3, v6, v3
	v_fmac_f32_e32 v4, v6, v2
	v_fma_f32 v5, v2, v7, -v3
	v_cvt_f64_f32_e32 v[2:3], v4
	v_cvt_f64_f32_e32 v[4:5], v5
	v_mul_f64 v[2:3], v[2:3], s[4:5]
	v_mul_f64 v[4:5], v[4:5], s[4:5]
	v_cvt_f32_f64_e32 v2, v[2:3]
	v_cvt_f32_f64_e32 v3, v[4:5]
	global_store_dwordx2 v[8:9], v[2:3], off
	global_load_dwordx2 v[6:7], v14, s[8:9] offset:72
	ds_read2_b64 v[2:5], v10 offset0:9 offset1:18
	v_mad_u64_u32 v[8:9], s[6:7], s0, v11, v[8:9]
	v_add_u32_e32 v9, s2, v9
	s_waitcnt vmcnt(0) lgkmcnt(0)
	v_mul_f32_e32 v12, v3, v7
	v_mul_f32_e32 v7, v2, v7
	v_fmac_f32_e32 v12, v2, v6
	v_fma_f32 v6, v6, v3, -v7
	v_cvt_f64_f32_e32 v[2:3], v12
	v_cvt_f64_f32_e32 v[6:7], v6
	v_mul_f64 v[2:3], v[2:3], s[4:5]
	v_mul_f64 v[6:7], v[6:7], s[4:5]
	v_cvt_f32_f64_e32 v2, v[2:3]
	v_cvt_f32_f64_e32 v3, v[6:7]
	global_store_dwordx2 v[8:9], v[2:3], off
	global_load_dwordx2 v[2:3], v14, s[8:9] offset:144
	v_mad_u64_u32 v[6:7], s[6:7], s0, v11, v[8:9]
	v_add_u32_e32 v7, s2, v7
	s_waitcnt vmcnt(0)
	v_mul_f32_e32 v8, v5, v3
	v_mul_f32_e32 v3, v4, v3
	v_fmac_f32_e32 v8, v4, v2
	v_fma_f32 v4, v2, v5, -v3
	v_cvt_f64_f32_e32 v[2:3], v8
	v_cvt_f64_f32_e32 v[4:5], v4
	v_mul_f64 v[2:3], v[2:3], s[4:5]
	v_mul_f64 v[4:5], v[4:5], s[4:5]
	v_cvt_f32_f64_e32 v2, v[2:3]
	v_cvt_f32_f64_e32 v3, v[4:5]
	global_store_dwordx2 v[6:7], v[2:3], off
	global_load_dwordx2 v[8:9], v14, s[8:9] offset:216
	ds_read2_b64 v[2:5], v10 offset0:27 offset1:36
	v_mad_u64_u32 v[6:7], s[6:7], s0, v11, v[6:7]
	v_add_u32_e32 v7, s2, v7
	s_waitcnt vmcnt(0) lgkmcnt(0)
	v_mul_f32_e32 v12, v3, v9
	v_mul_f32_e32 v9, v2, v9
	v_fmac_f32_e32 v12, v2, v8
	v_fma_f32 v8, v8, v3, -v9
	v_cvt_f64_f32_e32 v[2:3], v12
	v_cvt_f64_f32_e32 v[8:9], v8
	v_mul_f64 v[2:3], v[2:3], s[4:5]
	v_mul_f64 v[8:9], v[8:9], s[4:5]
	v_cvt_f32_f64_e32 v2, v[2:3]
	v_cvt_f32_f64_e32 v3, v[8:9]
	global_store_dwordx2 v[6:7], v[2:3], off
	global_load_dwordx2 v[2:3], v14, s[8:9] offset:288
	v_mad_u64_u32 v[6:7], s[6:7], s0, v11, v[6:7]
	v_add_u32_e32 v7, s2, v7
	s_waitcnt vmcnt(0)
	;; [unrolled: 31-line block ×7, first 2 shown]
	v_mul_f32_e32 v8, v5, v3
	v_mul_f32_e32 v3, v4, v3
	v_fmac_f32_e32 v8, v4, v2
	v_fma_f32 v4, v2, v5, -v3
	v_cvt_f64_f32_e32 v[2:3], v8
	v_cvt_f64_f32_e32 v[4:5], v4
	v_mul_f64 v[2:3], v[2:3], s[4:5]
	v_mul_f64 v[4:5], v[4:5], s[4:5]
	v_cvt_f32_f64_e32 v2, v[2:3]
	v_cvt_f32_f64_e32 v3, v[4:5]
	global_store_dwordx2 v[6:7], v[2:3], off
	global_load_dwordx2 v[8:9], v14, s[8:9] offset:1080
	ds_read2_b64 v[2:5], v10 offset0:135 offset1:144
	v_mad_u64_u32 v[6:7], s[6:7], s0, v11, v[6:7]
	v_add_u32_e32 v7, s2, v7
	s_waitcnt vmcnt(0) lgkmcnt(0)
	v_mul_f32_e32 v10, v3, v9
	v_mul_f32_e32 v9, v2, v9
	v_fmac_f32_e32 v10, v2, v8
	v_fma_f32 v8, v8, v3, -v9
	v_cvt_f64_f32_e32 v[2:3], v10
	v_cvt_f64_f32_e32 v[8:9], v8
	v_mul_f64 v[2:3], v[2:3], s[4:5]
	v_mul_f64 v[8:9], v[8:9], s[4:5]
	v_cvt_f32_f64_e32 v2, v[2:3]
	v_cvt_f32_f64_e32 v3, v[8:9]
	global_store_dwordx2 v[6:7], v[2:3], off
	global_load_dwordx2 v[2:3], v14, s[8:9] offset:1152
	v_or_b32_e32 v9, 0x90, v51
	v_mad_u64_u32 v[6:7], s[2:3], s0, v9, 0
	v_mov_b32_e32 v8, v7
	v_mad_u64_u32 v[8:9], s[0:1], s1, v9, v[8:9]
	v_mov_b32_e32 v7, v8
	v_lshl_add_u64 v[0:1], v[6:7], 3, v[0:1]
	s_waitcnt vmcnt(0)
	v_mul_f32_e32 v8, v5, v3
	v_mul_f32_e32 v3, v4, v3
	v_fmac_f32_e32 v8, v4, v2
	v_fma_f32 v4, v2, v5, -v3
	v_cvt_f64_f32_e32 v[2:3], v8
	v_cvt_f64_f32_e32 v[4:5], v4
	v_mul_f64 v[2:3], v[2:3], s[4:5]
	v_mul_f64 v[4:5], v[4:5], s[4:5]
	v_cvt_f32_f64_e32 v2, v[2:3]
	v_cvt_f32_f64_e32 v3, v[4:5]
	global_store_dwordx2 v[0:1], v[2:3], off
.LBB0_15:
	s_endpgm
	.section	.rodata,"a",@progbits
	.p2align	6, 0x0
	.amdhsa_kernel bluestein_single_back_len153_dim1_sp_op_CI_CI
		.amdhsa_group_segment_fixed_size 8568
		.amdhsa_private_segment_fixed_size 0
		.amdhsa_kernarg_size 104
		.amdhsa_user_sgpr_count 2
		.amdhsa_user_sgpr_dispatch_ptr 0
		.amdhsa_user_sgpr_queue_ptr 0
		.amdhsa_user_sgpr_kernarg_segment_ptr 1
		.amdhsa_user_sgpr_dispatch_id 0
		.amdhsa_user_sgpr_kernarg_preload_length 0
		.amdhsa_user_sgpr_kernarg_preload_offset 0
		.amdhsa_user_sgpr_private_segment_size 0
		.amdhsa_uses_dynamic_stack 0
		.amdhsa_enable_private_segment 0
		.amdhsa_system_sgpr_workgroup_id_x 1
		.amdhsa_system_sgpr_workgroup_id_y 0
		.amdhsa_system_sgpr_workgroup_id_z 0
		.amdhsa_system_sgpr_workgroup_info 0
		.amdhsa_system_vgpr_workitem_id 0
		.amdhsa_next_free_vgpr 302
		.amdhsa_next_free_sgpr 60
		.amdhsa_accum_offset 256
		.amdhsa_reserve_vcc 1
		.amdhsa_float_round_mode_32 0
		.amdhsa_float_round_mode_16_64 0
		.amdhsa_float_denorm_mode_32 3
		.amdhsa_float_denorm_mode_16_64 3
		.amdhsa_dx10_clamp 1
		.amdhsa_ieee_mode 1
		.amdhsa_fp16_overflow 0
		.amdhsa_tg_split 0
		.amdhsa_exception_fp_ieee_invalid_op 0
		.amdhsa_exception_fp_denorm_src 0
		.amdhsa_exception_fp_ieee_div_zero 0
		.amdhsa_exception_fp_ieee_overflow 0
		.amdhsa_exception_fp_ieee_underflow 0
		.amdhsa_exception_fp_ieee_inexact 0
		.amdhsa_exception_int_div_zero 0
	.end_amdhsa_kernel
	.text
.Lfunc_end0:
	.size	bluestein_single_back_len153_dim1_sp_op_CI_CI, .Lfunc_end0-bluestein_single_back_len153_dim1_sp_op_CI_CI
                                        ; -- End function
	.section	.AMDGPU.csdata,"",@progbits
; Kernel info:
; codeLenInByte = 14736
; NumSgprs: 66
; NumVgprs: 256
; NumAgprs: 46
; TotalNumVgprs: 302
; ScratchSize: 0
; MemoryBound: 0
; FloatMode: 240
; IeeeMode: 1
; LDSByteSize: 8568 bytes/workgroup (compile time only)
; SGPRBlocks: 8
; VGPRBlocks: 37
; NumSGPRsForWavesPerEU: 66
; NumVGPRsForWavesPerEU: 302
; AccumOffset: 256
; Occupancy: 1
; WaveLimiterHint : 1
; COMPUTE_PGM_RSRC2:SCRATCH_EN: 0
; COMPUTE_PGM_RSRC2:USER_SGPR: 2
; COMPUTE_PGM_RSRC2:TRAP_HANDLER: 0
; COMPUTE_PGM_RSRC2:TGID_X_EN: 1
; COMPUTE_PGM_RSRC2:TGID_Y_EN: 0
; COMPUTE_PGM_RSRC2:TGID_Z_EN: 0
; COMPUTE_PGM_RSRC2:TIDIG_COMP_CNT: 0
; COMPUTE_PGM_RSRC3_GFX90A:ACCUM_OFFSET: 63
; COMPUTE_PGM_RSRC3_GFX90A:TG_SPLIT: 0
	.text
	.p2alignl 6, 3212836864
	.fill 256, 4, 3212836864
	.type	__hip_cuid_196e4d54dd955feb,@object ; @__hip_cuid_196e4d54dd955feb
	.section	.bss,"aw",@nobits
	.globl	__hip_cuid_196e4d54dd955feb
__hip_cuid_196e4d54dd955feb:
	.byte	0                               ; 0x0
	.size	__hip_cuid_196e4d54dd955feb, 1

	.ident	"AMD clang version 19.0.0git (https://github.com/RadeonOpenCompute/llvm-project roc-6.4.0 25133 c7fe45cf4b819c5991fe208aaa96edf142730f1d)"
	.section	".note.GNU-stack","",@progbits
	.addrsig
	.addrsig_sym __hip_cuid_196e4d54dd955feb
	.amdgpu_metadata
---
amdhsa.kernels:
  - .agpr_count:     46
    .args:
      - .actual_access:  read_only
        .address_space:  global
        .offset:         0
        .size:           8
        .value_kind:     global_buffer
      - .actual_access:  read_only
        .address_space:  global
        .offset:         8
        .size:           8
        .value_kind:     global_buffer
      - .actual_access:  read_only
        .address_space:  global
        .offset:         16
        .size:           8
        .value_kind:     global_buffer
      - .actual_access:  read_only
        .address_space:  global
        .offset:         24
        .size:           8
        .value_kind:     global_buffer
      - .actual_access:  read_only
        .address_space:  global
        .offset:         32
        .size:           8
        .value_kind:     global_buffer
      - .offset:         40
        .size:           8
        .value_kind:     by_value
      - .address_space:  global
        .offset:         48
        .size:           8
        .value_kind:     global_buffer
      - .address_space:  global
        .offset:         56
        .size:           8
        .value_kind:     global_buffer
      - .address_space:  global
        .offset:         64
        .size:           8
        .value_kind:     global_buffer
      - .address_space:  global
        .offset:         72
        .size:           8
        .value_kind:     global_buffer
      - .offset:         80
        .size:           4
        .value_kind:     by_value
      - .address_space:  global
        .offset:         88
        .size:           8
        .value_kind:     global_buffer
      - .address_space:  global
        .offset:         96
        .size:           8
        .value_kind:     global_buffer
    .group_segment_fixed_size: 8568
    .kernarg_segment_align: 8
    .kernarg_segment_size: 104
    .language:       OpenCL C
    .language_version:
      - 2
      - 0
    .max_flat_workgroup_size: 119
    .name:           bluestein_single_back_len153_dim1_sp_op_CI_CI
    .private_segment_fixed_size: 0
    .sgpr_count:     66
    .sgpr_spill_count: 0
    .symbol:         bluestein_single_back_len153_dim1_sp_op_CI_CI.kd
    .uniform_work_group_size: 1
    .uses_dynamic_stack: false
    .vgpr_count:     302
    .vgpr_spill_count: 0
    .wavefront_size: 64
amdhsa.target:   amdgcn-amd-amdhsa--gfx950
amdhsa.version:
  - 1
  - 2
...

	.end_amdgpu_metadata
